;; amdgpu-corpus repo=ROCm/rocFFT kind=compiled arch=gfx1201 opt=O3
	.text
	.amdgcn_target "amdgcn-amd-amdhsa--gfx1201"
	.amdhsa_code_object_version 6
	.protected	bluestein_single_back_len1183_dim1_dp_op_CI_CI ; -- Begin function bluestein_single_back_len1183_dim1_dp_op_CI_CI
	.globl	bluestein_single_back_len1183_dim1_dp_op_CI_CI
	.p2align	8
	.type	bluestein_single_back_len1183_dim1_dp_op_CI_CI,@function
bluestein_single_back_len1183_dim1_dp_op_CI_CI: ; @bluestein_single_back_len1183_dim1_dp_op_CI_CI
; %bb.0:
	s_load_b128 s[12:15], s[0:1], 0x28
	v_mul_u32_u24_e32 v1, 0x2d1, v0
	v_mov_b32_e32 v6, 0
	s_mov_b32 s2, exec_lo
	s_delay_alu instid0(VALU_DEP_2) | instskip(NEXT) | instid1(VALU_DEP_1)
	v_lshrrev_b32_e32 v2, 16, v1
	v_lshl_add_u32 v5, ttmp9, 1, v2
	s_wait_kmcnt 0x0
	s_delay_alu instid0(VALU_DEP_1)
	v_cmpx_gt_u64_e64 s[12:13], v[5:6]
	s_cbranch_execz .LBB0_15
; %bb.1:
	s_clause 0x1
	s_load_b128 s[4:7], s[0:1], 0x18
	s_load_b64 s[12:13], s[0:1], 0x0
	v_mul_lo_u16 v1, 0x5b, v2
	v_mov_b32_e32 v6, v5
	s_delay_alu instid0(VALU_DEP_2)
	v_sub_nc_u16 v19, v0, v1
	scratch_store_b64 off, v[6:7], off offset:28 ; 8-byte Folded Spill
	s_wait_kmcnt 0x0
	s_load_b128 s[8:11], s[4:5], 0x0
	s_wait_kmcnt 0x0
	v_mad_co_u64_u32 v[0:1], null, s10, v5, 0
	s_mul_u64 s[2:3], s[8:9], 0xa9
	s_delay_alu instid0(VALU_DEP_1) | instskip(SKIP_1) | instid1(VALU_DEP_2)
	v_mad_co_u64_u32 v[5:6], null, s11, v5, v[1:2]
	v_and_b32_e32 v22, 0xffff, v19
	v_dual_mov_b32 v1, v5 :: v_dual_and_b32 v2, 1, v2
	s_delay_alu instid0(VALU_DEP_2)
	v_mad_co_u64_u32 v[3:4], null, s8, v22, 0
	v_lshlrev_b32_e32 v182, 4, v22
	s_clause 0x1
	global_load_b128 v[23:26], v182, s[12:13]
	global_load_b128 v[68:71], v182, s[12:13] offset:2704
	v_mad_co_u64_u32 v[6:7], null, s9, v22, v[4:5]
	v_lshlrev_b64_e32 v[0:1], 4, v[0:1]
	s_clause 0x1
	global_load_b128 v[72:75], v182, s[12:13] offset:5408
	global_load_b128 v[76:79], v182, s[12:13] offset:8112
	v_add_co_u32 v0, vcc_lo, s14, v0
	v_mov_b32_e32 v4, v6
	v_add_co_ci_u32_e32 v1, vcc_lo, s15, v1, vcc_lo
	s_lshl_b64 s[14:15], s[2:3], 4
	v_add_co_u32 v20, s2, s12, v182
	s_delay_alu instid0(VALU_DEP_3) | instskip(SKIP_1) | instid1(VALU_DEP_2)
	v_lshlrev_b64_e32 v[3:4], 4, v[3:4]
	v_add_co_ci_u32_e64 v21, null, s13, 0, s2
	v_add_co_u32 v0, vcc_lo, v0, v3
	s_wait_alu 0xfffd
	s_delay_alu instid0(VALU_DEP_3) | instskip(SKIP_1) | instid1(VALU_DEP_2)
	v_add_co_ci_u32_e32 v1, vcc_lo, v1, v4, vcc_lo
	s_wait_alu 0xfffe
	v_add_co_u32 v7, vcc_lo, v0, s14
	s_wait_alu 0xfffd
	s_delay_alu instid0(VALU_DEP_2) | instskip(SKIP_4) | instid1(VALU_DEP_2)
	v_add_co_ci_u32_e32 v8, vcc_lo, s15, v1, vcc_lo
	global_load_b128 v[3:6], v[0:1], off
	v_add_co_u32 v11, vcc_lo, v7, s14
	s_wait_alu 0xfffd
	v_add_co_ci_u32_e32 v12, vcc_lo, s15, v8, vcc_lo
	v_add_co_u32 v15, vcc_lo, v11, s14
	s_wait_alu 0xfffd
	s_delay_alu instid0(VALU_DEP_2)
	v_add_co_ci_u32_e32 v16, vcc_lo, s15, v12, vcc_lo
	s_clause 0x1
	global_load_b128 v[7:10], v[7:8], off
	global_load_b128 v[11:14], v[11:12], off
	v_add_co_u32 v0, vcc_lo, v15, s14
	s_wait_alu 0xfffd
	v_add_co_ci_u32_e32 v1, vcc_lo, s15, v16, vcc_lo
	s_clause 0x1
	global_load_b128 v[15:18], v[15:16], off
	global_load_b128 v[28:31], v[0:1], off
	v_add_co_u32 v32, vcc_lo, v0, s14
	s_wait_alu 0xfffd
	v_add_co_ci_u32_e32 v33, vcc_lo, s15, v1, vcc_lo
	s_delay_alu instid0(VALU_DEP_2) | instskip(SKIP_1) | instid1(VALU_DEP_2)
	v_add_co_u32 v0, vcc_lo, v32, s14
	s_wait_alu 0xfffd
	v_add_co_ci_u32_e32 v1, vcc_lo, s15, v33, vcc_lo
	s_clause 0x1
	global_load_b128 v[88:91], v182, s[12:13] offset:10816
	global_load_b128 v[84:87], v182, s[12:13] offset:13520
	global_load_b128 v[32:35], v[32:33], off
	global_load_b128 v[80:83], v182, s[12:13] offset:16224
	global_load_b128 v[36:39], v[0:1], off
	v_cmp_eq_u32_e32 vcc_lo, 1, v2
	s_wait_alu 0xfffd
	v_cndmask_b32_e64 v2, 0, 0x49f, vcc_lo
	v_cmp_gt_u16_e32 vcc_lo, 0x4e, v19
	s_wait_loadcnt 0xd
	scratch_store_b128 off, v[23:26], off offset:36 ; 16-byte Folded Spill
	s_wait_loadcnt 0xc
	scratch_store_b128 off, v[68:71], off offset:52 ; 16-byte Folded Spill
	;; [unrolled: 2-line block ×4, first 2 shown]
	s_wait_loadcnt 0x9
	v_mul_f64_e32 v[40:41], v[5:6], v[25:26]
	v_mul_f64_e32 v[42:43], v[3:4], v[25:26]
	s_wait_loadcnt 0x8
	v_mul_f64_e32 v[44:45], v[9:10], v[70:71]
	s_wait_loadcnt 0x7
	v_mul_f64_e32 v[48:49], v[13:14], v[74:75]
	v_mul_f64_e32 v[50:51], v[11:12], v[74:75]
	;; [unrolled: 1-line block ×3, first 2 shown]
	s_wait_loadcnt 0x6
	v_mul_f64_e32 v[52:53], v[17:18], v[78:79]
	v_mul_f64_e32 v[54:55], v[15:16], v[78:79]
	s_wait_loadcnt 0x4
	v_mul_f64_e32 v[56:57], v[30:31], v[90:91]
	v_mul_f64_e32 v[58:59], v[28:29], v[90:91]
	;; [unrolled: 3-line block ×4, first 2 shown]
	s_clause 0x2
	scratch_store_b128 off, v[88:91], off offset:132
	scratch_store_b128 off, v[84:87], off offset:116
	;; [unrolled: 1-line block ×3, first 2 shown]
	s_load_b64 s[10:11], s[0:1], 0x38
	s_load_b128 s[4:7], s[6:7], 0x0
	scratch_store_b64 off, v[20:21], off    ; 8-byte Folded Spill
	v_fma_f64 v[3:4], v[3:4], v[23:24], v[40:41]
	v_fma_f64 v[5:6], v[5:6], v[23:24], -v[42:43]
	v_lshlrev_b32_e32 v23, 4, v2
	s_delay_alu instid0(VALU_DEP_1)
	v_add_nc_u32_e32 v255, v23, v182
	v_fma_f64 v[7:8], v[7:8], v[68:69], v[44:45]
	v_fma_f64 v[11:12], v[11:12], v[72:73], v[48:49]
	v_fma_f64 v[13:14], v[13:14], v[72:73], -v[50:51]
	v_fma_f64 v[9:10], v[9:10], v[68:69], -v[46:47]
	ds_store_b128 v255, v[3:6]
	ds_store_b128 v255, v[7:10] offset:2704
	v_fma_f64 v[15:16], v[15:16], v[76:77], v[52:53]
	v_fma_f64 v[17:18], v[17:18], v[76:77], -v[54:55]
	v_fma_f64 v[28:29], v[28:29], v[88:89], v[56:57]
	v_fma_f64 v[30:31], v[30:31], v[88:89], -v[58:59]
	;; [unrolled: 2-line block ×4, first 2 shown]
	ds_store_b128 v255, v[11:14] offset:5408
	ds_store_b128 v255, v[15:18] offset:8112
	;; [unrolled: 1-line block ×5, first 2 shown]
	s_and_saveexec_b32 s3, vcc_lo
	s_cbranch_execz .LBB0_3
; %bb.2:
	scratch_load_b64 v[20:21], off, off     ; 8-byte Folded Reload
	v_mad_co_u64_u32 v[16:17], null, 0xffffc650, s8, v[0:1]
	s_mul_i32 s2, s9, 0xffffc650
	s_wait_loadcnt 0x0
	s_clause 0x1
	global_load_b128 v[0:3], v[20:21], off offset:1456
	global_load_b128 v[4:7], v[20:21], off offset:4160
	s_wait_alu 0xfffe
	s_sub_co_i32 s2, s2, s8
	s_clause 0x1
	global_load_b128 v[8:11], v[20:21], off offset:6864
	global_load_b128 v[12:15], v[20:21], off offset:9568
	s_wait_alu 0xfffe
	v_add_nc_u32_e32 v17, s2, v17
	v_add_co_u32 v28, s2, v16, s14
	s_wait_alu 0xf1ff
	s_delay_alu instid0(VALU_DEP_2) | instskip(NEXT) | instid1(VALU_DEP_2)
	v_add_co_ci_u32_e64 v29, s2, s15, v17, s2
	v_add_co_u32 v32, s2, v28, s14
	global_load_b128 v[16:19], v[16:17], off
	s_wait_alu 0xf1ff
	v_add_co_ci_u32_e64 v33, s2, s15, v29, s2
	v_add_co_u32 v36, s2, v32, s14
	global_load_b128 v[28:31], v[28:29], off
	s_wait_alu 0xf1ff
	v_add_co_ci_u32_e64 v37, s2, s15, v33, s2
	v_add_co_u32 v40, s2, v36, s14
	global_load_b128 v[32:35], v[32:33], off
	s_wait_alu 0xf1ff
	v_add_co_ci_u32_e64 v41, s2, s15, v37, s2
	v_add_co_u32 v52, s2, v40, s14
	global_load_b128 v[36:39], v[36:37], off
	s_wait_alu 0xf1ff
	v_add_co_ci_u32_e64 v53, s2, s15, v41, s2
	v_add_co_u32 v60, s2, v52, s14
	global_load_b128 v[40:43], v[40:41], off
	s_wait_alu 0xf1ff
	v_add_co_ci_u32_e64 v61, s2, s15, v53, s2
	s_clause 0x1
	global_load_b128 v[44:47], v[20:21], off offset:12272
	global_load_b128 v[48:51], v[20:21], off offset:14976
	global_load_b128 v[52:55], v[52:53], off
	global_load_b128 v[56:59], v[20:21], off offset:17680
	global_load_b128 v[60:63], v[60:61], off
	s_wait_loadcnt 0x9
	v_mul_f64_e32 v[64:65], v[18:19], v[2:3]
	v_mul_f64_e32 v[2:3], v[16:17], v[2:3]
	s_wait_loadcnt 0x8
	v_mul_f64_e32 v[66:67], v[30:31], v[6:7]
	v_mul_f64_e32 v[6:7], v[28:29], v[6:7]
	;; [unrolled: 3-line block ×7, first 2 shown]
	v_fma_f64 v[14:15], v[16:17], v[0:1], v[64:65]
	v_fma_f64 v[16:17], v[18:19], v[0:1], -v[2:3]
	v_fma_f64 v[0:1], v[28:29], v[4:5], v[66:67]
	v_fma_f64 v[2:3], v[30:31], v[4:5], -v[6:7]
	v_fma_f64 v[4:5], v[32:33], v[8:9], v[68:69]
	v_fma_f64 v[6:7], v[34:35], v[8:9], -v[10:11]
	v_fma_f64 v[8:9], v[36:37], v[12:13], v[70:71]
	v_fma_f64 v[10:11], v[38:39], v[12:13], -v[72:73]
	v_fma_f64 v[28:29], v[40:41], v[44:45], v[74:75]
	v_fma_f64 v[30:31], v[42:43], v[44:45], -v[46:47]
	v_fma_f64 v[32:33], v[52:53], v[48:49], v[76:77]
	v_fma_f64 v[34:35], v[54:55], v[48:49], -v[50:51]
	v_fma_f64 v[36:37], v[60:61], v[56:57], v[78:79]
	v_fma_f64 v[38:39], v[62:63], v[56:57], -v[58:59]
	ds_store_b128 v255, v[14:17] offset:1456
	ds_store_b128 v255, v[0:3] offset:4160
	;; [unrolled: 1-line block ×7, first 2 shown]
.LBB0_3:
	s_wait_alu 0xfffe
	s_or_b32 exec_lo, exec_lo, s3
	global_wb scope:SCOPE_SE
	s_wait_storecnt_dscnt 0x0
	s_wait_kmcnt 0x0
	s_barrier_signal -1
	s_barrier_wait -1
	global_inv scope:SCOPE_SE
	ds_load_b128 v[32:35], v255
	ds_load_b128 v[36:39], v255 offset:2704
	ds_load_b128 v[52:55], v255 offset:5408
	;; [unrolled: 1-line block ×6, first 2 shown]
	s_load_b64 s[30:31], s[0:1], 0x8
                                        ; implicit-def: $vgpr28_vgpr29
                                        ; implicit-def: $vgpr64_vgpr65
                                        ; implicit-def: $vgpr60_vgpr61
                                        ; implicit-def: $vgpr68_vgpr69
                                        ; implicit-def: $vgpr72_vgpr73
                                        ; implicit-def: $vgpr76_vgpr77
                                        ; implicit-def: $vgpr80_vgpr81
	s_and_saveexec_b32 s0, vcc_lo
	s_cbranch_execz .LBB0_5
; %bb.4:
	ds_load_b128 v[28:31], v255 offset:1456
	ds_load_b128 v[64:67], v255 offset:4160
	;; [unrolled: 1-line block ×7, first 2 shown]
.LBB0_5:
	s_wait_alu 0xfffe
	s_or_b32 exec_lo, exec_lo, s0
	s_wait_dscnt 0x0
	v_add_f64_e32 v[16:17], v[36:37], v[48:49]
	v_add_f64_e32 v[18:19], v[38:39], v[50:51]
	v_add_f64_e32 v[84:85], v[52:53], v[56:57]
	v_add_f64_e32 v[86:87], v[54:55], v[58:59]
	v_add_f64_e32 v[0:1], v[64:65], v[80:81]
	v_add_f64_e32 v[4:5], v[66:67], v[82:83]
	v_add_f64_e32 v[2:3], v[60:61], v[76:77]
	v_add_f64_e32 v[6:7], v[62:63], v[78:79]
	v_add_f64_e64 v[52:53], v[52:53], -v[56:57]
	v_add_f64_e64 v[54:55], v[54:55], -v[58:59]
	v_add_f64_e32 v[56:57], v[40:41], v[44:45]
	v_add_f64_e32 v[58:59], v[42:43], v[46:47]
	v_add_f64_e64 v[40:41], v[44:45], -v[40:41]
	v_add_f64_e64 v[42:43], v[46:47], -v[42:43]
	;; [unrolled: 1-line block ×6, first 2 shown]
	v_add_f64_e32 v[36:37], v[68:69], v[72:73]
	v_add_f64_e32 v[38:39], v[70:71], v[74:75]
	v_add_f64_e64 v[46:47], v[72:73], -v[68:69]
	v_add_f64_e64 v[50:51], v[74:75], -v[70:71]
	s_mov_b32 s14, 0x37e14327
	s_mov_b32 s8, 0xe976ee23
	;; [unrolled: 1-line block ×15, first 2 shown]
	v_mul_lo_u16 v20, v22, 7
	v_add_co_u32 v21, null, 0x5b, v22
	v_add_f64_e32 v[12:13], v[84:85], v[16:17]
	v_add_f64_e32 v[14:15], v[86:87], v[18:19]
	s_delay_alu instid0(VALU_DEP_4) | instskip(SKIP_2) | instid1(VALU_DEP_3)
	v_and_b32_e32 v20, 0xffff, v20
	v_add_f64_e32 v[64:65], v[2:3], v[0:1]
	v_add_f64_e32 v[66:67], v[6:7], v[4:5]
	v_lshl_add_u32 v215, v20, 4, v23
	v_add_f64_e64 v[68:69], v[16:17], -v[56:57]
	v_add_f64_e64 v[70:71], v[18:19], -v[58:59]
	;; [unrolled: 1-line block ×6, first 2 shown]
	v_add_f64_e32 v[52:53], v[40:41], v[52:53]
	v_add_f64_e32 v[54:55], v[42:43], v[54:55]
	v_add_f64_e64 v[96:97], v[44:45], -v[40:41]
	v_add_f64_e64 v[42:43], v[48:49], -v[42:43]
	;; [unrolled: 1-line block ×5, first 2 shown]
	v_mul_u32_u24_e32 v20, 7, v21
	v_add_f64_e32 v[88:89], v[56:57], v[12:13]
	v_add_f64_e32 v[90:91], v[58:59], v[14:15]
	v_add_f64_e64 v[14:15], v[60:61], -v[76:77]
	v_add_f64_e64 v[12:13], v[62:63], -v[78:79]
	;; [unrolled: 1-line block ×4, first 2 shown]
	v_add_f64_e32 v[64:65], v[36:37], v[64:65]
	v_add_f64_e32 v[66:67], v[38:39], v[66:67]
	v_add_f64_e64 v[56:57], v[56:57], -v[84:85]
	v_add_f64_e64 v[58:59], v[58:59], -v[86:87]
	;; [unrolled: 1-line block ×4, first 2 shown]
	s_wait_alu 0xfffe
	v_mul_f64_e32 v[68:69], s[14:15], v[68:69]
	v_mul_f64_e32 v[70:71], s[14:15], v[70:71]
	;; [unrolled: 1-line block ×4, first 2 shown]
	v_add_f64_e64 v[18:19], v[36:37], -v[2:3]
	v_mul_f64_e32 v[98:99], s[0:1], v[80:81]
	v_mul_f64_e32 v[100:101], s[0:1], v[82:83]
	;; [unrolled: 1-line block ×3, first 2 shown]
	v_add_f64_e32 v[44:45], v[52:53], v[44:45]
	v_add_f64_e32 v[60:61], v[32:33], v[88:89]
	;; [unrolled: 1-line block ×5, first 2 shown]
	v_add_f64_e64 v[46:47], v[46:47], -v[14:15]
	v_add_f64_e64 v[36:37], v[50:51], -v[12:13]
	v_mul_f64_e32 v[16:17], s[14:15], v[76:77]
	v_mul_f64_e32 v[34:35], s[14:15], v[78:79]
	;; [unrolled: 1-line block ×3, first 2 shown]
	v_add_f64_e32 v[28:29], v[28:29], v[64:65]
	v_add_f64_e32 v[30:31], v[30:31], v[66:67]
	v_mul_f64_e32 v[106:107], s[2:3], v[56:57]
	v_mul_f64_e32 v[108:109], s[2:3], v[58:59]
	s_mov_b32 s14, 0x5476071b
	s_mov_b32 s15, 0x3fe77f67
	s_wait_alu 0xfffe
	s_mov_b32 s16, s14
	v_add_f64_e32 v[50:51], v[54:55], v[48:49]
	v_fma_f64 v[52:53], v[56:57], s[2:3], v[68:69]
	v_fma_f64 v[76:77], v[58:59], s[2:3], v[70:71]
	;; [unrolled: 1-line block ×4, first 2 shown]
	v_fma_f64 v[72:73], v[80:81], s[0:1], -v[72:73]
	v_fma_f64 v[74:75], v[82:83], s[0:1], -v[74:75]
	;; [unrolled: 1-line block ×6, first 2 shown]
	s_mov_b32 s18, 0x37c3f68c
	s_mov_b32 s19, 0x3fdc38aa
	v_fma_f64 v[82:83], v[88:89], s[20:21], v[60:61]
	v_fma_f64 v[88:89], v[90:91], s[20:21], v[62:63]
	v_add_f64_e32 v[58:59], v[102:103], v[10:11]
	v_add_f64_e32 v[56:57], v[104:105], v[8:9]
	v_fma_f64 v[96:97], v[46:47], s[8:9], v[38:39]
	v_fma_f64 v[90:91], v[18:19], s[2:3], v[16:17]
	;; [unrolled: 1-line block ×6, first 2 shown]
	v_fma_f64 v[84:85], v[84:85], s[14:15], -v[106:107]
	v_fma_f64 v[86:87], v[86:87], s[14:15], -v[108:109]
	s_wait_alu 0xfffe
	v_fma_f64 v[64:65], v[44:45], s[18:19], v[78:79]
	v_fma_f64 v[66:67], v[50:51], s[18:19], v[92:93]
	;; [unrolled: 1-line block ×6, first 2 shown]
	v_add_f64_e32 v[106:107], v[52:53], v[82:83]
	v_add_f64_e32 v[108:109], v[76:77], v[88:89]
	;; [unrolled: 1-line block ×4, first 2 shown]
	v_fma_f64 v[50:51], v[58:59], s[18:19], v[96:97]
	v_fma_f64 v[42:43], v[56:57], s[18:19], v[98:99]
	v_add_f64_e32 v[44:45], v[90:91], v[48:49]
	v_add_f64_e32 v[52:53], v[94:95], v[54:55]
	;; [unrolled: 1-line block ×5, first 2 shown]
	v_add_f64_e64 v[70:71], v[108:109], -v[64:65]
	v_add_f64_e32 v[72:73], v[110:111], v[104:105]
	v_add_f64_e64 v[74:75], v[112:113], -v[102:103]
	v_add_f64_e64 v[84:85], v[110:111], -v[104:105]
	v_add_f64_e32 v[86:87], v[102:103], v[112:113]
	v_add_f64_e64 v[88:89], v[106:107], -v[66:67]
	v_add_f64_e32 v[90:91], v[64:65], v[108:109]
	;; [unrolled: 2-line block ×4, first 2 shown]
	v_add_f64_e32 v[80:81], v[80:81], v[100:101]
	v_add_f64_e64 v[82:83], v[82:83], -v[92:93]
	scratch_store_b128 off, v[24:27], off offset:12 ; 16-byte Folded Spill
	global_wb scope:SCOPE_SE
	s_wait_storecnt 0x0
	s_wait_kmcnt 0x0
	s_barrier_signal -1
	s_barrier_wait -1
	global_inv scope:SCOPE_SE
	scratch_store_b32 off, v20, off offset:196 ; 4-byte Folded Spill
	ds_store_b128 v215, v[60:63]
	ds_store_b128 v215, v[68:71] offset:16
	ds_store_b128 v215, v[72:75] offset:32
	;; [unrolled: 1-line block ×6, first 2 shown]
	s_and_saveexec_b32 s20, vcc_lo
	s_cbranch_execz .LBB0_7
; %bb.6:
	scratch_load_b32 v20, off, off offset:196 ; 4-byte Folded Reload
	v_add_f64_e64 v[10:11], v[14:15], -v[10:11]
	v_add_f64_e64 v[4:5], v[6:7], -v[4:5]
	v_mul_f64_e32 v[6:7], s[2:3], v[40:41]
	v_mul_f64_e32 v[14:15], s[8:9], v[46:47]
	v_add_f64_e64 v[0:1], v[2:3], -v[0:1]
	v_add_f64_e64 v[2:3], v[12:13], -v[8:9]
	v_mul_f64_e32 v[8:9], s[2:3], v[18:19]
	v_mul_f64_e32 v[12:13], s[8:9], v[36:37]
	s_mov_b32 s3, 0xbfebfeb5
	s_mov_b32 s2, s0
	v_mul_f64_e32 v[18:19], s[18:19], v[58:59]
	v_mul_f64_e32 v[36:37], s[18:19], v[56:57]
	s_wait_alu 0xfffe
	v_fma_f64 v[38:39], v[10:11], s[2:3], -v[38:39]
	v_fma_f64 v[34:35], v[4:5], s[16:17], -v[34:35]
	;; [unrolled: 1-line block ×8, first 2 shown]
	v_add_f64_e32 v[8:9], v[18:19], v[38:39]
	v_add_f64_e32 v[12:13], v[34:35], v[54:55]
	;; [unrolled: 1-line block ×8, first 2 shown]
	v_add_f64_e64 v[2:3], v[52:53], -v[50:51]
	v_add_f64_e32 v[0:1], v[44:45], v[42:43]
	v_add_f64_e64 v[18:19], v[12:13], -v[8:9]
	v_add_f64_e32 v[6:7], v[8:9], v[12:13]
	;; [unrolled: 2-line block ×3, first 2 shown]
	v_add_f64_e32 v[16:17], v[32:33], v[34:35]
	v_add_f64_e64 v[4:5], v[32:33], -v[34:35]
	v_add_f64_e64 v[12:13], v[38:39], -v[36:37]
	v_add_f64_e32 v[8:9], v[38:39], v[36:37]
	s_wait_loadcnt 0x0
	v_lshl_add_u32 v20, v20, 4, v23
	ds_store_b128 v20, v[28:31]
	ds_store_b128 v20, v[0:3] offset:16
	ds_store_b128 v20, v[16:19] offset:32
	;; [unrolled: 1-line block ×5, first 2 shown]
	scratch_load_b128 v[0:3], off, off offset:12 ; 16-byte Folded Reload
	s_wait_loadcnt 0x0
	ds_store_b128 v20, v[0:3] offset:96
.LBB0_7:
	s_wait_alu 0xfffe
	s_or_b32 exec_lo, exec_lo, s20
	v_and_b32_e32 v0, 0xff, v22
	global_wb scope:SCOPE_SE
	s_wait_storecnt_dscnt 0x0
	s_barrier_signal -1
	s_barrier_wait -1
	global_inv scope:SCOPE_SE
	v_mul_lo_u16 v0, v0, 37
	s_mov_b32 s44, 0x4267c47c
	s_mov_b32 s24, 0x42a4c3d2
	;; [unrolled: 1-line block ×4, first 2 shown]
	v_lshrrev_b16 v0, 8, v0
	s_mov_b32 s22, 0x24c2f84
	s_mov_b32 s28, 0x4bc48dbf
	;; [unrolled: 1-line block ×4, first 2 shown]
	v_sub_nc_u16 v1, v22, v0
	s_mov_b32 s27, 0xbfefc445
	s_mov_b32 s21, 0xbfedeba7
	;; [unrolled: 1-line block ×4, first 2 shown]
	v_lshrrev_b16 v1, 1, v1
	s_mov_b32 s18, 0xe00740e9
	s_mov_b32 s14, 0x1ea71119
	;; [unrolled: 1-line block ×4, first 2 shown]
	v_and_b32_e32 v1, 0x7f, v1
	s_mov_b32 s2, 0xd0032e0c
	s_mov_b32 s0, 0x93053d00
	;; [unrolled: 1-line block ×4, first 2 shown]
	v_add_nc_u16 v0, v1, v0
	s_mov_b32 s17, 0x3fbedb7d
	s_mov_b32 s9, 0xbfd6b1d8
	;; [unrolled: 1-line block ×4, first 2 shown]
	v_lshrrev_b16 v16, 2, v0
	s_mov_b32 s39, 0x3fe5384d
	s_wait_alu 0xfffe
	s_mov_b32 s38, s22
	s_mov_b32 s35, 0x3fefc445
	;; [unrolled: 1-line block ×3, first 2 shown]
	v_mul_lo_u16 v0, v16, 7
	s_mov_b32 s37, 0x3fddbe06
	s_mov_b32 s36, s44
	s_mov_b32 s47, 0x3fedeba7
	s_mov_b32 s46, s20
	v_sub_nc_u16 v0, v22, v0
	s_mov_b32 s43, 0x3fcea1e5
	s_mov_b32 s42, s28
	;; [unrolled: 1-line block ×4, first 2 shown]
	v_and_b32_e32 v17, 0xff, v0
	v_and_b32_e32 v16, 0xffff, v16
	s_delay_alu instid0(VALU_DEP_2) | instskip(NEXT) | instid1(VALU_DEP_2)
	v_mul_u32_u24_e32 v0, 12, v17
	v_mul_u32_u24_e32 v16, 0x5b, v16
	s_delay_alu instid0(VALU_DEP_2) | instskip(NEXT) | instid1(VALU_DEP_2)
	v_lshlrev_b32_e32 v0, 4, v0
	v_add_nc_u32_e32 v16, v16, v17
	s_clause 0x1
	global_load_b128 v[32:35], v0, s[30:31]
	global_load_b128 v[28:31], v0, s[30:31] offset:16
	ds_load_b128 v[40:43], v255 offset:1456
	ds_load_b128 v[1:4], v255
	global_load_b128 v[24:27], v0, s[30:31] offset:32
	ds_load_b128 v[5:8], v255 offset:2912
	ds_load_b128 v[9:12], v255 offset:4368
	s_wait_loadcnt_dscnt 0x203
	v_mul_f64_e32 v[13:14], v[42:43], v[34:35]
	v_mul_f64_e32 v[18:19], v[40:41], v[34:35]
	s_wait_loadcnt_dscnt 0x101
	v_mul_f64_e32 v[44:45], v[7:8], v[30:31]
	s_clause 0x1
	scratch_store_b128 off, v[32:35], off offset:180
	scratch_store_b128 off, v[28:31], off offset:164
	s_wait_loadcnt 0x0
	scratch_store_b128 off, v[24:27], off offset:148 ; 16-byte Folded Spill
	v_fma_f64 v[13:14], v[40:41], v[32:33], -v[13:14]
	v_mul_f64_e32 v[40:41], v[5:6], v[30:31]
	v_fma_f64 v[18:19], v[42:43], v[32:33], v[18:19]
	v_fma_f64 v[88:89], v[5:6], v[28:29], -v[44:45]
	s_wait_dscnt 0x0
	v_mul_f64_e32 v[5:6], v[11:12], v[26:27]
	s_delay_alu instid0(VALU_DEP_4) | instskip(SKIP_3) | instid1(VALU_DEP_1)
	v_fma_f64 v[90:91], v[7:8], v[28:29], v[40:41]
	global_load_b128 v[40:43], v0, s[30:31] offset:48
	v_fma_f64 v[92:93], v[9:10], v[24:25], -v[5:6]
	v_mul_f64_e32 v[5:6], v[9:10], v[26:27]
	v_fma_f64 v[94:95], v[11:12], v[24:25], v[5:6]
	ds_load_b128 v[5:8], v255 offset:5824
	ds_load_b128 v[9:12], v255 offset:7280
	s_wait_loadcnt_dscnt 0x1
	v_mul_f64_e32 v[44:45], v[7:8], v[42:43]
	s_delay_alu instid0(VALU_DEP_1) | instskip(SKIP_4) | instid1(VALU_DEP_1)
	v_fma_f64 v[96:97], v[5:6], v[40:41], -v[44:45]
	s_clause 0x1
	global_load_b128 v[52:55], v0, s[30:31] offset:64
	global_load_b128 v[44:47], v0, s[30:31] offset:80
	v_mul_f64_e32 v[5:6], v[5:6], v[42:43]
	v_fma_f64 v[98:99], v[7:8], v[40:41], v[5:6]
	s_wait_loadcnt_dscnt 0x100
	v_mul_f64_e32 v[5:6], v[11:12], v[54:55]
	s_delay_alu instid0(VALU_DEP_1) | instskip(SKIP_1) | instid1(VALU_DEP_1)
	v_fma_f64 v[100:101], v[9:10], v[52:53], -v[5:6]
	v_mul_f64_e32 v[5:6], v[9:10], v[54:55]
	v_fma_f64 v[102:103], v[11:12], v[52:53], v[5:6]
	ds_load_b128 v[5:8], v255 offset:8736
	ds_load_b128 v[9:12], v255 offset:10192
	s_wait_loadcnt_dscnt 0x1
	v_mul_f64_e32 v[48:49], v[7:8], v[46:47]
	s_delay_alu instid0(VALU_DEP_1) | instskip(SKIP_4) | instid1(VALU_DEP_1)
	v_fma_f64 v[104:105], v[5:6], v[44:45], -v[48:49]
	s_clause 0x1
	global_load_b128 v[56:59], v0, s[30:31] offset:96
	global_load_b128 v[48:51], v0, s[30:31] offset:112
	v_mul_f64_e32 v[5:6], v[5:6], v[46:47]
	v_fma_f64 v[106:107], v[7:8], v[44:45], v[5:6]
	s_wait_loadcnt_dscnt 0x100
	v_mul_f64_e32 v[5:6], v[11:12], v[58:59]
	s_delay_alu instid0(VALU_DEP_1) | instskip(SKIP_1) | instid1(VALU_DEP_2)
	v_fma_f64 v[108:109], v[9:10], v[56:57], -v[5:6]
	v_mul_f64_e32 v[5:6], v[9:10], v[58:59]
	v_add_f64_e64 v[218:219], v[104:105], -v[108:109]
	s_delay_alu instid0(VALU_DEP_2)
	v_fma_f64 v[110:111], v[11:12], v[56:57], v[5:6]
	ds_load_b128 v[5:8], v255 offset:11648
	ds_load_b128 v[9:12], v255 offset:13104
	v_add_f64_e32 v[213:214], v[104:105], v[108:109]
	s_wait_loadcnt_dscnt 0x1
	v_mul_f64_e32 v[60:61], v[7:8], v[50:51]
	v_mul_f64_e32 v[222:223], s[28:29], v[218:219]
	v_add_f64_e64 v[211:212], v[106:107], -v[110:111]
	v_add_f64_e32 v[220:221], v[106:107], v[110:111]
	s_delay_alu instid0(VALU_DEP_4)
	v_fma_f64 v[112:113], v[5:6], v[48:49], -v[60:61]
	s_clause 0x1
	global_load_b128 v[60:63], v0, s[30:31] offset:128
	global_load_b128 v[68:71], v0, s[30:31] offset:144
	v_mul_f64_e32 v[5:6], v[5:6], v[50:51]
	v_mul_f64_e32 v[216:217], s[28:29], v[211:212]
	s_delay_alu instid0(VALU_DEP_2) | instskip(SKIP_2) | instid1(VALU_DEP_1)
	v_fma_f64 v[114:115], v[7:8], v[48:49], v[5:6]
	s_wait_loadcnt_dscnt 0x100
	v_mul_f64_e32 v[5:6], v[11:12], v[62:63]
	v_fma_f64 v[116:117], v[9:10], v[60:61], -v[5:6]
	v_mul_f64_e32 v[5:6], v[9:10], v[62:63]
	s_delay_alu instid0(VALU_DEP_2) | instskip(NEXT) | instid1(VALU_DEP_2)
	v_add_f64_e64 v[197:198], v[96:97], -v[116:117]
	v_fma_f64 v[118:119], v[11:12], v[60:61], v[5:6]
	ds_load_b128 v[5:8], v255 offset:14560
	ds_load_b128 v[9:12], v255 offset:16016
	s_wait_loadcnt_dscnt 0x1
	v_mul_f64_e32 v[72:73], v[7:8], v[70:71]
	v_mul_f64_e32 v[205:206], s[20:21], v[197:198]
	v_add_f64_e64 v[195:196], v[98:99], -v[118:119]
	v_add_f64_e32 v[185:186], v[98:99], v[118:119]
	s_delay_alu instid0(VALU_DEP_4)
	v_fma_f64 v[120:121], v[5:6], v[68:69], -v[72:73]
	s_clause 0x1
	global_load_b128 v[72:75], v0, s[30:31] offset:160
	global_load_b128 v[76:79], v0, s[30:31] offset:176
	v_mul_f64_e32 v[5:6], v[5:6], v[70:71]
	v_mul_f64_e32 v[203:204], s[20:21], v[195:196]
	s_delay_alu instid0(VALU_DEP_2) | instskip(SKIP_2) | instid1(VALU_DEP_1)
	v_fma_f64 v[122:123], v[7:8], v[68:69], v[5:6]
	s_wait_loadcnt_dscnt 0x100
	v_mul_f64_e32 v[5:6], v[11:12], v[74:75]
	v_fma_f64 v[124:125], v[9:10], v[72:73], -v[5:6]
	v_mul_f64_e32 v[5:6], v[9:10], v[74:75]
	s_delay_alu instid0(VALU_DEP_1)
	v_fma_f64 v[126:127], v[11:12], v[72:73], v[5:6]
	ds_load_b128 v[5:8], v255 offset:17472
	global_wb scope:SCOPE_SE
	s_wait_storecnt 0x0
	s_wait_loadcnt_dscnt 0x0
	s_barrier_signal -1
	s_barrier_wait -1
	global_inv scope:SCOPE_SE
	v_mul_f64_e32 v[9:10], v[5:6], v[78:79]
	s_delay_alu instid0(VALU_DEP_1) | instskip(SKIP_1) | instid1(VALU_DEP_2)
	v_fma_f64 v[128:129], v[7:8], v[76:77], v[9:10]
	v_mul_f64_e32 v[7:8], v[7:8], v[78:79]
	v_add_f64_e32 v[152:153], v[18:19], v[128:129]
	s_delay_alu instid0(VALU_DEP_2) | instskip(SKIP_1) | instid1(VALU_DEP_2)
	v_fma_f64 v[130:131], v[5:6], v[76:77], -v[7:8]
	v_add_f64_e64 v[5:6], v[18:19], -v[128:129]
	v_add_f64_e32 v[84:85], v[13:14], v[130:131]
	s_delay_alu instid0(VALU_DEP_2)
	v_mul_f64_e32 v[7:8], s[44:45], v[5:6]
	v_mul_f64_e32 v[9:10], s[24:25], v[5:6]
	;; [unrolled: 1-line block ×6, first 2 shown]
	v_fma_f64 v[86:87], v[84:85], s[18:19], -v[7:8]
	v_fma_f64 v[7:8], v[84:85], s[18:19], v[7:8]
	v_fma_f64 v[136:137], v[84:85], s[14:15], -v[9:10]
	v_fma_f64 v[9:10], v[84:85], s[14:15], v[9:10]
	;; [unrolled: 2-line block ×6, first 2 shown]
	v_add_f64_e64 v[84:85], v[13:14], -v[130:131]
	v_add_f64_e32 v[201:202], v[1:2], v[136:137]
	v_add_f64_e32 v[193:194], v[1:2], v[9:10]
	;; [unrolled: 1-line block ×8, first 2 shown]
	v_mul_f64_e32 v[148:149], s[20:21], v[84:85]
	v_mul_f64_e32 v[132:133], s[44:45], v[84:85]
	;; [unrolled: 1-line block ×6, first 2 shown]
	v_fma_f64 v[164:165], v[152:153], s[8:9], v[148:149]
	v_fma_f64 v[148:149], v[152:153], s[8:9], -v[148:149]
	v_fma_f64 v[154:155], v[152:153], s[18:19], v[132:133]
	v_fma_f64 v[162:163], v[152:153], s[16:17], v[146:147]
	v_fma_f64 v[146:147], v[152:153], s[16:17], -v[146:147]
	v_fma_f64 v[156:157], v[152:153], s[18:19], -v[132:133]
	v_fma_f64 v[158:159], v[152:153], s[14:15], v[134:135]
	v_fma_f64 v[160:161], v[152:153], s[14:15], -v[134:135]
	v_fma_f64 v[172:173], v[152:153], s[2:3], v[150:151]
	;; [unrolled: 2-line block ×3, first 2 shown]
	v_fma_f64 v[183:184], v[152:153], s[0:1], -v[84:85]
	v_add_f64_e32 v[132:133], v[1:2], v[13:14]
	v_add_f64_e32 v[134:135], v[3:4], v[18:19]
	;; [unrolled: 1-line block ×6, first 2 shown]
	v_add_f64_e64 v[148:149], v[90:91], -v[126:127]
	v_add_f64_e32 v[18:19], v[3:4], v[154:155]
	v_add_f64_e32 v[187:188], v[3:4], v[162:163]
	;; [unrolled: 1-line block ×13, first 2 shown]
	v_add_f64_e64 v[150:151], v[88:89], -v[124:125]
	v_add_f64_e32 v[142:143], v[90:91], v[126:127]
	v_add_f64_e64 v[172:173], v[94:95], -v[122:123]
	v_add_f64_e32 v[156:157], v[92:93], v[120:121]
	;; [unrolled: 2-line block ×3, first 2 shown]
	v_add_f64_e32 v[183:184], v[96:97], v[116:117]
	v_mul_f64_e32 v[0:1], s[24:25], v[148:149]
	s_delay_alu instid0(VALU_DEP_1) | instskip(SKIP_1) | instid1(VALU_DEP_2)
	v_fma_f64 v[2:3], v[140:141], s[14:15], -v[0:1]
	v_fma_f64 v[0:1], v[140:141], s[14:15], v[0:1]
	v_add_f64_e32 v[6:7], v[2:3], v[13:14]
	v_mul_f64_e32 v[2:3], s[24:25], v[150:151]
	s_delay_alu instid0(VALU_DEP_3) | instskip(NEXT) | instid1(VALU_DEP_2)
	v_add_f64_e32 v[0:1], v[0:1], v[86:87]
	v_fma_f64 v[4:5], v[142:143], s[14:15], v[2:3]
	v_fma_f64 v[2:3], v[142:143], s[14:15], -v[2:3]
	s_delay_alu instid0(VALU_DEP_2) | instskip(SKIP_1) | instid1(VALU_DEP_3)
	v_add_f64_e32 v[8:9], v[4:5], v[18:19]
	v_mul_f64_e32 v[4:5], s[26:27], v[172:173]
	v_add_f64_e32 v[2:3], v[2:3], v[84:85]
	s_delay_alu instid0(VALU_DEP_2) | instskip(SKIP_1) | instid1(VALU_DEP_2)
	v_fma_f64 v[10:11], v[156:157], s[16:17], -v[4:5]
	v_fma_f64 v[4:5], v[156:157], s[16:17], v[4:5]
	v_add_f64_e32 v[10:11], v[10:11], v[6:7]
	v_mul_f64_e32 v[6:7], s[26:27], v[174:175]
	s_delay_alu instid0(VALU_DEP_3) | instskip(NEXT) | instid1(VALU_DEP_2)
	v_add_f64_e32 v[0:1], v[4:5], v[0:1]
	v_fma_f64 v[12:13], v[158:159], s[16:17], v[6:7]
	v_fma_f64 v[4:5], v[158:159], s[16:17], -v[6:7]
	v_fma_f64 v[6:7], v[220:221], s[0:1], -v[222:223]
	s_delay_alu instid0(VALU_DEP_3) | instskip(SKIP_1) | instid1(VALU_DEP_4)
	v_add_f64_e32 v[8:9], v[12:13], v[8:9]
	v_fma_f64 v[12:13], v[183:184], s[8:9], -v[203:204]
	v_add_f64_e32 v[2:3], v[4:5], v[2:3]
	v_fma_f64 v[4:5], v[183:184], s[8:9], v[203:204]
	s_delay_alu instid0(VALU_DEP_3) | instskip(SKIP_1) | instid1(VALU_DEP_3)
	v_add_f64_e32 v[10:11], v[12:13], v[10:11]
	v_fma_f64 v[12:13], v[185:186], s[8:9], v[205:206]
	v_add_f64_e32 v[0:1], v[4:5], v[0:1]
	v_fma_f64 v[4:5], v[185:186], s[8:9], -v[205:206]
	s_delay_alu instid0(VALU_DEP_3) | instskip(SKIP_2) | instid1(VALU_DEP_4)
	v_add_f64_e32 v[18:19], v[12:13], v[8:9]
	v_add_f64_e64 v[12:13], v[102:103], -v[114:115]
	v_add_f64_e32 v[8:9], v[100:101], v[112:113]
	v_add_f64_e32 v[2:3], v[4:5], v[2:3]
	s_delay_alu instid0(VALU_DEP_3) | instskip(NEXT) | instid1(VALU_DEP_1)
	v_mul_f64_e32 v[207:208], s[22:23], v[12:13]
	v_fma_f64 v[14:15], v[8:9], s[2:3], -v[207:208]
	v_fma_f64 v[4:5], v[8:9], s[2:3], v[207:208]
	s_delay_alu instid0(VALU_DEP_2) | instskip(SKIP_2) | instid1(VALU_DEP_4)
	v_add_f64_e32 v[80:81], v[14:15], v[10:11]
	v_add_f64_e64 v[14:15], v[100:101], -v[112:113]
	v_add_f64_e32 v[10:11], v[102:103], v[114:115]
	v_add_f64_e32 v[0:1], v[4:5], v[0:1]
	s_delay_alu instid0(VALU_DEP_3) | instskip(NEXT) | instid1(VALU_DEP_1)
	v_mul_f64_e32 v[209:210], s[22:23], v[14:15]
	v_fma_f64 v[82:83], v[10:11], s[2:3], v[209:210]
	v_fma_f64 v[4:5], v[10:11], s[2:3], -v[209:210]
	s_delay_alu instid0(VALU_DEP_2) | instskip(SKIP_1) | instid1(VALU_DEP_3)
	v_add_f64_e32 v[18:19], v[82:83], v[18:19]
	v_fma_f64 v[82:83], v[213:214], s[0:1], -v[216:217]
	v_add_f64_e32 v[2:3], v[4:5], v[2:3]
	v_fma_f64 v[4:5], v[213:214], s[0:1], v[216:217]
	s_delay_alu instid0(VALU_DEP_3) | instskip(SKIP_1) | instid1(VALU_DEP_3)
	v_add_f64_e32 v[80:81], v[82:83], v[80:81]
	v_fma_f64 v[82:83], v[220:221], s[0:1], v[222:223]
	v_add_f64_e32 v[84:85], v[4:5], v[0:1]
	v_add_f64_e32 v[86:87], v[6:7], v[2:3]
	v_mul_f64_e32 v[4:5], s[20:21], v[148:149]
	v_mul_f64_e32 v[6:7], s[20:21], v[150:151]
	v_add_f64_e32 v[82:83], v[82:83], v[18:19]
	v_mul_f64_e32 v[18:19], s[28:29], v[172:173]
	s_delay_alu instid0(VALU_DEP_4) | instskip(NEXT) | instid1(VALU_DEP_4)
	v_fma_f64 v[0:1], v[140:141], s[8:9], -v[4:5]
	v_fma_f64 v[2:3], v[142:143], s[8:9], v[6:7]
	v_fma_f64 v[4:5], v[140:141], s[8:9], v[4:5]
	v_fma_f64 v[6:7], v[142:143], s[8:9], -v[6:7]
	s_delay_alu instid0(VALU_DEP_4) | instskip(NEXT) | instid1(VALU_DEP_4)
	v_add_f64_e32 v[0:1], v[0:1], v[201:202]
	v_add_f64_e32 v[2:3], v[2:3], v[199:200]
	v_fma_f64 v[199:200], v[156:157], s[0:1], -v[18:19]
	v_add_f64_e32 v[4:5], v[4:5], v[193:194]
	v_fma_f64 v[18:19], v[156:157], s[0:1], v[18:19]
	v_add_f64_e32 v[6:7], v[6:7], v[191:192]
	s_delay_alu instid0(VALU_DEP_4) | instskip(SKIP_1) | instid1(VALU_DEP_4)
	v_add_f64_e32 v[0:1], v[199:200], v[0:1]
	v_mul_f64_e32 v[199:200], s[28:29], v[174:175]
	v_add_f64_e32 v[4:5], v[18:19], v[4:5]
	s_delay_alu instid0(VALU_DEP_2) | instskip(SKIP_1) | instid1(VALU_DEP_2)
	v_fma_f64 v[201:202], v[158:159], s[0:1], v[199:200]
	v_fma_f64 v[18:19], v[158:159], s[0:1], -v[199:200]
	v_add_f64_e32 v[2:3], v[201:202], v[2:3]
	v_mul_f64_e32 v[201:202], s[38:39], v[195:196]
	s_delay_alu instid0(VALU_DEP_3) | instskip(NEXT) | instid1(VALU_DEP_2)
	v_add_f64_e32 v[6:7], v[18:19], v[6:7]
	v_fma_f64 v[203:204], v[183:184], s[2:3], -v[201:202]
	v_fma_f64 v[18:19], v[183:184], s[2:3], v[201:202]
	s_delay_alu instid0(VALU_DEP_2) | instskip(SKIP_1) | instid1(VALU_DEP_3)
	v_add_f64_e32 v[0:1], v[203:204], v[0:1]
	v_mul_f64_e32 v[203:204], s[38:39], v[197:198]
	v_add_f64_e32 v[4:5], v[18:19], v[4:5]
	s_delay_alu instid0(VALU_DEP_2) | instskip(SKIP_1) | instid1(VALU_DEP_2)
	v_fma_f64 v[205:206], v[185:186], s[2:3], v[203:204]
	v_fma_f64 v[18:19], v[185:186], s[2:3], -v[203:204]
	v_add_f64_e32 v[2:3], v[205:206], v[2:3]
	v_mul_f64_e32 v[205:206], s[34:35], v[12:13]
	s_delay_alu instid0(VALU_DEP_3) | instskip(NEXT) | instid1(VALU_DEP_2)
	v_add_f64_e32 v[6:7], v[18:19], v[6:7]
	v_fma_f64 v[207:208], v[8:9], s[16:17], -v[205:206]
	v_fma_f64 v[18:19], v[8:9], s[16:17], v[205:206]
	s_delay_alu instid0(VALU_DEP_2) | instskip(SKIP_1) | instid1(VALU_DEP_3)
	;; [unrolled: 13-line block ×3, first 2 shown]
	v_add_f64_e32 v[0:1], v[216:217], v[0:1]
	v_mul_f64_e32 v[216:217], s[36:37], v[218:219]
	v_add_f64_e32 v[4:5], v[18:19], v[4:5]
	v_mul_f64_e32 v[18:19], s[28:29], v[148:149]
	s_delay_alu instid0(VALU_DEP_3) | instskip(SKIP_2) | instid1(VALU_DEP_3)
	v_fma_f64 v[191:192], v[220:221], s[18:19], -v[216:217]
	v_fma_f64 v[222:223], v[220:221], s[18:19], v[216:217]
	v_mul_f64_e32 v[216:217], s[22:23], v[211:212]
	v_add_f64_e32 v[6:7], v[191:192], v[6:7]
	v_fma_f64 v[191:192], v[140:141], s[0:1], -v[18:19]
	v_fma_f64 v[18:19], v[140:141], s[0:1], v[18:19]
	v_add_f64_e32 v[2:3], v[222:223], v[2:3]
	v_mul_f64_e32 v[222:223], s[22:23], v[218:219]
	s_delay_alu instid0(VALU_DEP_4) | instskip(SKIP_2) | instid1(VALU_DEP_2)
	v_add_f64_e32 v[189:190], v[191:192], v[189:190]
	v_mul_f64_e32 v[191:192], s[28:29], v[150:151]
	v_add_f64_e32 v[18:19], v[18:19], v[178:179]
	v_fma_f64 v[193:194], v[142:143], s[0:1], v[191:192]
	v_fma_f64 v[178:179], v[142:143], s[0:1], -v[191:192]
	v_fma_f64 v[191:192], v[220:221], s[2:3], -v[222:223]
	s_delay_alu instid0(VALU_DEP_3) | instskip(SKIP_1) | instid1(VALU_DEP_4)
	v_add_f64_e32 v[187:188], v[193:194], v[187:188]
	v_mul_f64_e32 v[193:194], s[46:47], v[172:173]
	v_add_f64_e32 v[176:177], v[178:179], v[176:177]
	s_delay_alu instid0(VALU_DEP_2) | instskip(SKIP_1) | instid1(VALU_DEP_2)
	v_fma_f64 v[199:200], v[156:157], s[8:9], -v[193:194]
	v_fma_f64 v[178:179], v[156:157], s[8:9], v[193:194]
	v_add_f64_e32 v[189:190], v[199:200], v[189:190]
	v_mul_f64_e32 v[199:200], s[46:47], v[174:175]
	s_delay_alu instid0(VALU_DEP_3) | instskip(NEXT) | instid1(VALU_DEP_2)
	v_add_f64_e32 v[18:19], v[178:179], v[18:19]
	v_fma_f64 v[201:202], v[158:159], s[8:9], v[199:200]
	v_fma_f64 v[178:179], v[158:159], s[8:9], -v[199:200]
	s_delay_alu instid0(VALU_DEP_2) | instskip(SKIP_1) | instid1(VALU_DEP_3)
	v_add_f64_e32 v[187:188], v[201:202], v[187:188]
	v_mul_f64_e32 v[201:202], s[36:37], v[195:196]
	v_add_f64_e32 v[176:177], v[178:179], v[176:177]
	s_delay_alu instid0(VALU_DEP_2) | instskip(SKIP_1) | instid1(VALU_DEP_2)
	v_fma_f64 v[203:204], v[183:184], s[18:19], -v[201:202]
	v_fma_f64 v[178:179], v[183:184], s[18:19], v[201:202]
	v_add_f64_e32 v[189:190], v[203:204], v[189:190]
	v_mul_f64_e32 v[203:204], s[36:37], v[197:198]
	s_delay_alu instid0(VALU_DEP_3) | instskip(NEXT) | instid1(VALU_DEP_2)
	v_add_f64_e32 v[18:19], v[178:179], v[18:19]
	v_fma_f64 v[205:206], v[185:186], s[18:19], v[203:204]
	v_fma_f64 v[178:179], v[185:186], s[18:19], -v[203:204]
	s_delay_alu instid0(VALU_DEP_2) | instskip(SKIP_1) | instid1(VALU_DEP_3)
	v_add_f64_e32 v[187:188], v[205:206], v[187:188]
	v_mul_f64_e32 v[205:206], s[24:25], v[12:13]
	v_add_f64_e32 v[176:177], v[178:179], v[176:177]
	s_delay_alu instid0(VALU_DEP_2) | instskip(SKIP_1) | instid1(VALU_DEP_2)
	v_fma_f64 v[207:208], v[8:9], s[14:15], -v[205:206]
	v_fma_f64 v[178:179], v[8:9], s[14:15], v[205:206]
	v_add_f64_e32 v[189:190], v[207:208], v[189:190]
	v_mul_f64_e32 v[207:208], s[24:25], v[14:15]
	s_delay_alu instid0(VALU_DEP_3) | instskip(NEXT) | instid1(VALU_DEP_2)
	v_add_f64_e32 v[18:19], v[178:179], v[18:19]
	v_fma_f64 v[178:179], v[10:11], s[14:15], -v[207:208]
	v_fma_f64 v[209:210], v[10:11], s[14:15], v[207:208]
	s_delay_alu instid0(VALU_DEP_2) | instskip(SKIP_1) | instid1(VALU_DEP_3)
	v_add_f64_e32 v[178:179], v[178:179], v[176:177]
	v_fma_f64 v[176:177], v[213:214], s[2:3], v[216:217]
	v_add_f64_e32 v[209:210], v[209:210], v[187:188]
	v_fma_f64 v[187:188], v[213:214], s[2:3], -v[216:217]
	v_mul_f64_e32 v[216:217], s[40:41], v[211:212]
	v_add_f64_e32 v[178:179], v[191:192], v[178:179]
	v_add_f64_e32 v[176:177], v[176:177], v[18:19]
	v_mul_f64_e32 v[18:19], s[38:39], v[148:149]
	v_add_f64_e32 v[187:188], v[187:188], v[189:190]
	v_fma_f64 v[189:190], v[220:221], s[2:3], v[222:223]
	v_mul_f64_e32 v[222:223], s[40:41], v[218:219]
	s_delay_alu instid0(VALU_DEP_4) | instskip(SKIP_1) | instid1(VALU_DEP_4)
	v_fma_f64 v[191:192], v[140:141], s[2:3], -v[18:19]
	v_fma_f64 v[18:19], v[140:141], s[2:3], v[18:19]
	v_add_f64_e32 v[189:190], v[189:190], v[209:210]
	s_delay_alu instid0(VALU_DEP_3) | instskip(SKIP_1) | instid1(VALU_DEP_4)
	v_add_f64_e32 v[170:171], v[191:192], v[170:171]
	v_mul_f64_e32 v[191:192], s[38:39], v[150:151]
	v_add_f64_e32 v[18:19], v[18:19], v[166:167]
	s_delay_alu instid0(VALU_DEP_2) | instskip(SKIP_2) | instid1(VALU_DEP_3)
	v_fma_f64 v[193:194], v[142:143], s[2:3], v[191:192]
	v_fma_f64 v[166:167], v[142:143], s[2:3], -v[191:192]
	v_fma_f64 v[191:192], v[220:221], s[14:15], -v[222:223]
	v_add_f64_e32 v[168:169], v[193:194], v[168:169]
	v_mul_f64_e32 v[193:194], s[36:37], v[172:173]
	s_delay_alu instid0(VALU_DEP_4) | instskip(NEXT) | instid1(VALU_DEP_2)
	v_add_f64_e32 v[164:165], v[166:167], v[164:165]
	v_fma_f64 v[199:200], v[156:157], s[18:19], -v[193:194]
	v_fma_f64 v[166:167], v[156:157], s[18:19], v[193:194]
	s_delay_alu instid0(VALU_DEP_2) | instskip(SKIP_1) | instid1(VALU_DEP_3)
	v_add_f64_e32 v[170:171], v[199:200], v[170:171]
	v_mul_f64_e32 v[199:200], s[36:37], v[174:175]
	v_add_f64_e32 v[18:19], v[166:167], v[18:19]
	s_delay_alu instid0(VALU_DEP_2) | instskip(SKIP_1) | instid1(VALU_DEP_2)
	v_fma_f64 v[201:202], v[158:159], s[18:19], v[199:200]
	v_fma_f64 v[166:167], v[158:159], s[18:19], -v[199:200]
	v_add_f64_e32 v[168:169], v[201:202], v[168:169]
	v_mul_f64_e32 v[201:202], s[26:27], v[195:196]
	s_delay_alu instid0(VALU_DEP_3) | instskip(NEXT) | instid1(VALU_DEP_2)
	v_add_f64_e32 v[164:165], v[166:167], v[164:165]
	v_fma_f64 v[203:204], v[183:184], s[16:17], -v[201:202]
	v_fma_f64 v[166:167], v[183:184], s[16:17], v[201:202]
	s_delay_alu instid0(VALU_DEP_2) | instskip(SKIP_1) | instid1(VALU_DEP_3)
	v_add_f64_e32 v[170:171], v[203:204], v[170:171]
	v_mul_f64_e32 v[203:204], s[26:27], v[197:198]
	v_add_f64_e32 v[18:19], v[166:167], v[18:19]
	s_delay_alu instid0(VALU_DEP_2) | instskip(SKIP_1) | instid1(VALU_DEP_2)
	v_fma_f64 v[205:206], v[185:186], s[16:17], v[203:204]
	v_fma_f64 v[166:167], v[185:186], s[16:17], -v[203:204]
	v_add_f64_e32 v[168:169], v[205:206], v[168:169]
	v_mul_f64_e32 v[205:206], s[42:43], v[12:13]
	s_delay_alu instid0(VALU_DEP_3) | instskip(NEXT) | instid1(VALU_DEP_2)
	v_add_f64_e32 v[164:165], v[166:167], v[164:165]
	v_fma_f64 v[207:208], v[8:9], s[0:1], -v[205:206]
	v_fma_f64 v[166:167], v[8:9], s[0:1], v[205:206]
	s_delay_alu instid0(VALU_DEP_2) | instskip(SKIP_1) | instid1(VALU_DEP_3)
	v_add_f64_e32 v[170:171], v[207:208], v[170:171]
	v_mul_f64_e32 v[207:208], s[42:43], v[14:15]
	v_add_f64_e32 v[18:19], v[166:167], v[18:19]
	s_delay_alu instid0(VALU_DEP_2) | instskip(SKIP_1) | instid1(VALU_DEP_2)
	v_fma_f64 v[166:167], v[10:11], s[0:1], -v[207:208]
	v_fma_f64 v[209:210], v[10:11], s[0:1], v[207:208]
	v_add_f64_e32 v[166:167], v[166:167], v[164:165]
	v_fma_f64 v[164:165], v[213:214], s[14:15], v[216:217]
	s_delay_alu instid0(VALU_DEP_3)
	v_add_f64_e32 v[209:210], v[209:210], v[168:169]
	v_fma_f64 v[168:169], v[213:214], s[14:15], -v[216:217]
	v_mul_f64_e32 v[216:217], s[20:21], v[211:212]
	v_add_f64_e32 v[166:167], v[191:192], v[166:167]
	v_add_f64_e32 v[164:165], v[164:165], v[18:19]
	v_mul_f64_e32 v[18:19], s[34:35], v[148:149]
	v_add_f64_e32 v[168:169], v[168:169], v[170:171]
	v_fma_f64 v[170:171], v[220:221], s[14:15], v[222:223]
	v_mul_f64_e32 v[222:223], s[20:21], v[218:219]
	s_delay_alu instid0(VALU_DEP_4) | instskip(SKIP_1) | instid1(VALU_DEP_4)
	v_fma_f64 v[191:192], v[140:141], s[16:17], -v[18:19]
	v_fma_f64 v[18:19], v[140:141], s[16:17], v[18:19]
	v_add_f64_e32 v[170:171], v[170:171], v[209:210]
	s_delay_alu instid0(VALU_DEP_3) | instskip(SKIP_1) | instid1(VALU_DEP_4)
	v_add_f64_e32 v[162:163], v[191:192], v[162:163]
	v_mul_f64_e32 v[191:192], s[34:35], v[150:151]
	v_add_f64_e32 v[18:19], v[18:19], v[154:155]
	s_delay_alu instid0(VALU_DEP_2) | instskip(SKIP_2) | instid1(VALU_DEP_3)
	v_fma_f64 v[193:194], v[142:143], s[16:17], v[191:192]
	v_fma_f64 v[154:155], v[142:143], s[16:17], -v[191:192]
	v_fma_f64 v[191:192], v[220:221], s[8:9], -v[222:223]
	v_add_f64_e32 v[160:161], v[193:194], v[160:161]
	v_mul_f64_e32 v[193:194], s[24:25], v[172:173]
	s_delay_alu instid0(VALU_DEP_4) | instskip(NEXT) | instid1(VALU_DEP_2)
	v_add_f64_e32 v[152:153], v[154:155], v[152:153]
	v_fma_f64 v[199:200], v[156:157], s[14:15], -v[193:194]
	v_fma_f64 v[154:155], v[156:157], s[14:15], v[193:194]
	s_delay_alu instid0(VALU_DEP_2) | instskip(SKIP_1) | instid1(VALU_DEP_3)
	v_add_f64_e32 v[162:163], v[199:200], v[162:163]
	v_mul_f64_e32 v[199:200], s[24:25], v[174:175]
	v_add_f64_e32 v[18:19], v[154:155], v[18:19]
	s_delay_alu instid0(VALU_DEP_2) | instskip(SKIP_1) | instid1(VALU_DEP_2)
	v_fma_f64 v[201:202], v[158:159], s[14:15], v[199:200]
	v_fma_f64 v[154:155], v[158:159], s[14:15], -v[199:200]
	v_add_f64_e32 v[160:161], v[201:202], v[160:161]
	v_mul_f64_e32 v[201:202], s[42:43], v[195:196]
	s_delay_alu instid0(VALU_DEP_3) | instskip(NEXT) | instid1(VALU_DEP_2)
	v_add_f64_e32 v[152:153], v[154:155], v[152:153]
	v_fma_f64 v[203:204], v[183:184], s[0:1], -v[201:202]
	v_fma_f64 v[154:155], v[183:184], s[0:1], v[201:202]
	s_delay_alu instid0(VALU_DEP_2) | instskip(SKIP_1) | instid1(VALU_DEP_3)
	v_add_f64_e32 v[162:163], v[203:204], v[162:163]
	v_mul_f64_e32 v[203:204], s[42:43], v[197:198]
	v_add_f64_e32 v[18:19], v[154:155], v[18:19]
	s_delay_alu instid0(VALU_DEP_2) | instskip(SKIP_1) | instid1(VALU_DEP_2)
	v_fma_f64 v[205:206], v[185:186], s[0:1], v[203:204]
	v_fma_f64 v[154:155], v[185:186], s[0:1], -v[203:204]
	v_add_f64_e32 v[160:161], v[205:206], v[160:161]
	v_mul_f64_e32 v[205:206], s[36:37], v[12:13]
	s_delay_alu instid0(VALU_DEP_3) | instskip(NEXT) | instid1(VALU_DEP_2)
	v_add_f64_e32 v[152:153], v[154:155], v[152:153]
	v_fma_f64 v[207:208], v[8:9], s[18:19], -v[205:206]
	v_fma_f64 v[154:155], v[8:9], s[18:19], v[205:206]
	s_delay_alu instid0(VALU_DEP_2) | instskip(SKIP_1) | instid1(VALU_DEP_3)
	v_add_f64_e32 v[162:163], v[207:208], v[162:163]
	v_mul_f64_e32 v[207:208], s[36:37], v[14:15]
	v_add_f64_e32 v[18:19], v[154:155], v[18:19]
	s_delay_alu instid0(VALU_DEP_2) | instskip(SKIP_1) | instid1(VALU_DEP_2)
	v_fma_f64 v[154:155], v[10:11], s[18:19], -v[207:208]
	v_fma_f64 v[209:210], v[10:11], s[18:19], v[207:208]
	v_add_f64_e32 v[154:155], v[154:155], v[152:153]
	v_fma_f64 v[152:153], v[213:214], s[8:9], v[216:217]
	s_delay_alu instid0(VALU_DEP_3)
	v_add_f64_e32 v[209:210], v[209:210], v[160:161]
	v_fma_f64 v[160:161], v[213:214], s[8:9], -v[216:217]
	v_lshl_add_u32 v216, v16, 4, v23
	v_add_f64_e32 v[154:155], v[191:192], v[154:155]
	v_add_f64_e32 v[152:153], v[152:153], v[18:19]
	v_mul_f64_e32 v[18:19], s[36:37], v[148:149]
	v_add_f64_e32 v[160:161], v[160:161], v[162:163]
	v_fma_f64 v[162:163], v[220:221], s[8:9], v[222:223]
	s_delay_alu instid0(VALU_DEP_3) | instskip(SKIP_1) | instid1(VALU_DEP_3)
	v_fma_f64 v[148:149], v[140:141], s[18:19], -v[18:19]
	v_fma_f64 v[18:19], v[140:141], s[18:19], v[18:19]
	v_add_f64_e32 v[162:163], v[162:163], v[209:210]
	s_delay_alu instid0(VALU_DEP_3) | instskip(SKIP_1) | instid1(VALU_DEP_4)
	v_add_f64_e32 v[146:147], v[148:149], v[146:147]
	v_mul_f64_e32 v[148:149], s[36:37], v[150:151]
	v_add_f64_e32 v[18:19], v[18:19], v[136:137]
	s_delay_alu instid0(VALU_DEP_2) | instskip(SKIP_1) | instid1(VALU_DEP_2)
	v_fma_f64 v[150:151], v[142:143], s[18:19], v[148:149]
	v_fma_f64 v[140:141], v[142:143], s[18:19], -v[148:149]
	v_add_f64_e32 v[144:145], v[150:151], v[144:145]
	v_mul_f64_e32 v[150:151], s[22:23], v[172:173]
	s_delay_alu instid0(VALU_DEP_3) | instskip(NEXT) | instid1(VALU_DEP_2)
	v_add_f64_e32 v[136:137], v[140:141], v[138:139]
	v_fma_f64 v[172:173], v[156:157], s[2:3], -v[150:151]
	v_fma_f64 v[142:143], v[156:157], s[2:3], v[150:151]
	s_delay_alu instid0(VALU_DEP_2) | instskip(SKIP_1) | instid1(VALU_DEP_3)
	v_add_f64_e32 v[146:147], v[172:173], v[146:147]
	v_mul_f64_e32 v[172:173], s[22:23], v[174:175]
	v_add_f64_e32 v[18:19], v[142:143], v[18:19]
	s_delay_alu instid0(VALU_DEP_2) | instskip(SKIP_1) | instid1(VALU_DEP_2)
	v_fma_f64 v[174:175], v[158:159], s[2:3], v[172:173]
	v_fma_f64 v[148:149], v[158:159], s[2:3], -v[172:173]
	v_add_f64_e32 v[144:145], v[174:175], v[144:145]
	v_mul_f64_e32 v[174:175], s[40:41], v[195:196]
	s_delay_alu instid0(VALU_DEP_3) | instskip(SKIP_1) | instid1(VALU_DEP_3)
	v_add_f64_e32 v[136:137], v[148:149], v[136:137]
	v_mul_f64_e32 v[195:196], s[34:35], v[218:219]
	v_fma_f64 v[191:192], v[183:184], s[14:15], -v[174:175]
	v_fma_f64 v[138:139], v[183:184], s[14:15], v[174:175]
	s_delay_alu instid0(VALU_DEP_2) | instskip(SKIP_1) | instid1(VALU_DEP_3)
	v_add_f64_e32 v[146:147], v[191:192], v[146:147]
	v_mul_f64_e32 v[191:192], s[40:41], v[197:198]
	v_add_f64_e32 v[18:19], v[138:139], v[18:19]
	s_delay_alu instid0(VALU_DEP_2) | instskip(SKIP_1) | instid1(VALU_DEP_2)
	v_fma_f64 v[193:194], v[185:186], s[14:15], v[191:192]
	v_fma_f64 v[140:141], v[185:186], s[14:15], -v[191:192]
	v_add_f64_e32 v[144:145], v[193:194], v[144:145]
	v_mul_f64_e32 v[193:194], s[20:21], v[12:13]
	s_delay_alu instid0(VALU_DEP_3) | instskip(SKIP_1) | instid1(VALU_DEP_3)
	v_add_f64_e32 v[136:137], v[140:141], v[136:137]
	v_fma_f64 v[140:141], v[220:221], s[16:17], -v[195:196]
	v_fma_f64 v[12:13], v[8:9], s[8:9], -v[193:194]
	v_fma_f64 v[8:9], v[8:9], s[8:9], v[193:194]
	s_delay_alu instid0(VALU_DEP_2) | instskip(NEXT) | instid1(VALU_DEP_2)
	v_add_f64_e32 v[12:13], v[12:13], v[146:147]
	v_add_f64_e32 v[8:9], v[8:9], v[18:19]
	v_add_f64_e32 v[18:19], v[132:133], v[88:89]
	v_add_f64_e32 v[88:89], v[134:135], v[90:91]
	v_mul_f64_e32 v[146:147], s[20:21], v[14:15]
	s_delay_alu instid0(VALU_DEP_3) | instskip(NEXT) | instid1(VALU_DEP_3)
	v_add_f64_e32 v[18:19], v[18:19], v[92:93]
	v_add_f64_e32 v[88:89], v[88:89], v[94:95]
	s_delay_alu instid0(VALU_DEP_3)
	v_fma_f64 v[14:15], v[10:11], s[8:9], v[146:147]
	v_fma_f64 v[10:11], v[10:11], s[8:9], -v[146:147]
	v_mov_b32_e32 v92, v23
	v_add_f64_e32 v[18:19], v[18:19], v[96:97]
	v_add_f64_e32 v[88:89], v[88:89], v[98:99]
	;; [unrolled: 1-line block ×3, first 2 shown]
	v_mul_f64_e32 v[144:145], s[34:35], v[211:212]
	v_add_f64_e32 v[10:11], v[10:11], v[136:137]
	v_add_f64_e32 v[18:19], v[18:19], v[100:101]
	;; [unrolled: 1-line block ×3, first 2 shown]
	s_delay_alu instid0(VALU_DEP_4)
	v_fma_f64 v[197:198], v[213:214], s[16:17], -v[144:145]
	v_fma_f64 v[138:139], v[213:214], s[16:17], v[144:145]
	v_add_f64_e32 v[10:11], v[140:141], v[10:11]
	v_add_f64_e32 v[18:19], v[18:19], v[104:105]
	;; [unrolled: 1-line block ×4, first 2 shown]
	v_fma_f64 v[197:198], v[220:221], s[16:17], v[195:196]
	v_add_f64_e32 v[8:9], v[138:139], v[8:9]
	v_add_f64_e32 v[18:19], v[18:19], v[108:109]
	;; [unrolled: 1-line block ×3, first 2 shown]
	s_delay_alu instid0(VALU_DEP_4) | instskip(NEXT) | instid1(VALU_DEP_3)
	v_add_f64_e32 v[14:15], v[197:198], v[14:15]
	v_add_f64_e32 v[18:19], v[18:19], v[112:113]
	s_delay_alu instid0(VALU_DEP_3) | instskip(NEXT) | instid1(VALU_DEP_2)
	v_add_f64_e32 v[88:89], v[88:89], v[114:115]
	v_add_f64_e32 v[18:19], v[18:19], v[116:117]
	s_delay_alu instid0(VALU_DEP_2) | instskip(NEXT) | instid1(VALU_DEP_2)
	v_add_f64_e32 v[88:89], v[88:89], v[118:119]
	v_add_f64_e32 v[18:19], v[18:19], v[120:121]
	s_delay_alu instid0(VALU_DEP_2) | instskip(NEXT) | instid1(VALU_DEP_2)
	;; [unrolled: 3-line block ×3, first 2 shown]
	v_add_f64_e32 v[90:91], v[88:89], v[126:127]
	v_add_f64_e32 v[88:89], v[18:19], v[130:131]
	s_delay_alu instid0(VALU_DEP_2)
	v_add_f64_e32 v[90:91], v[90:91], v[128:129]
	ds_store_b128 v216, v[0:3] offset:224
	ds_store_b128 v216, v[187:190] offset:336
	;; [unrolled: 1-line block ×12, first 2 shown]
	ds_store_b128 v216, v[88:91]
	v_mad_co_u64_u32 v[12:13], null, 0xc0, v22, s[30:31]
	global_wb scope:SCOPE_SE
	s_wait_dscnt 0x0
	s_barrier_signal -1
	s_barrier_wait -1
	global_inv scope:SCOPE_SE
	scratch_store_b32 off, v22, off offset:8 ; 4-byte Folded Spill
	s_clause 0x1
	global_load_b128 v[16:19], v[12:13], off offset:1344
	global_load_b128 v[20:23], v[12:13], off offset:1360
	ds_load_b128 v[0:3], v255 offset:1456
	ds_load_b128 v[4:7], v255
	s_wait_loadcnt_dscnt 0x101
	v_mul_f64_e32 v[8:9], v[2:3], v[18:19]
	scratch_store_b128 off, v[16:19], off offset:216 ; 16-byte Folded Spill
	v_fma_f64 v[14:15], v[0:1], v[16:17], -v[8:9]
	v_mul_f64_e32 v[0:1], v[0:1], v[18:19]
	s_wait_dscnt 0x0
	s_delay_alu instid0(VALU_DEP_2) | instskip(NEXT) | instid1(VALU_DEP_2)
	v_add_f64_e32 v[84:85], v[4:5], v[14:15]
	v_fma_f64 v[16:17], v[2:3], v[16:17], v[0:1]
	ds_load_b128 v[0:3], v255 offset:2912
	ds_load_b128 v[8:11], v255 offset:4368
	s_wait_loadcnt 0x0
	scratch_store_b128 off, v[20:23], off offset:200 ; 16-byte Folded Spill
	s_wait_dscnt 0x1
	v_mul_f64_e32 v[18:19], v[2:3], v[22:23]
	v_add_f64_e32 v[86:87], v[6:7], v[16:17]
	s_delay_alu instid0(VALU_DEP_2) | instskip(SKIP_1) | instid1(VALU_DEP_1)
	v_fma_f64 v[148:149], v[0:1], v[20:21], -v[18:19]
	v_mul_f64_e32 v[0:1], v[0:1], v[22:23]
	v_fma_f64 v[150:151], v[2:3], v[20:21], v[0:1]
	s_clause 0x1
	global_load_b128 v[24:27], v[12:13], off offset:1376
	global_load_b128 v[20:23], v[12:13], off offset:1392
	s_wait_loadcnt_dscnt 0x100
	v_mul_f64_e32 v[0:1], v[10:11], v[26:27]
	scratch_store_b128 off, v[24:27], off offset:312 ; 16-byte Folded Spill
	v_fma_f64 v[156:157], v[8:9], v[24:25], -v[0:1]
	v_mul_f64_e32 v[0:1], v[8:9], v[26:27]
	s_delay_alu instid0(VALU_DEP_1)
	v_fma_f64 v[158:159], v[10:11], v[24:25], v[0:1]
	ds_load_b128 v[0:3], v255 offset:5824
	ds_load_b128 v[8:11], v255 offset:7280
	s_wait_loadcnt 0x0
	scratch_store_b128 off, v[20:23], off offset:248 ; 16-byte Folded Spill
	s_wait_dscnt 0x1
	v_mul_f64_e32 v[18:19], v[2:3], v[22:23]
	s_delay_alu instid0(VALU_DEP_1) | instskip(SKIP_1) | instid1(VALU_DEP_1)
	v_fma_f64 v[160:161], v[0:1], v[20:21], -v[18:19]
	v_mul_f64_e32 v[0:1], v[0:1], v[22:23]
	v_fma_f64 v[162:163], v[2:3], v[20:21], v[0:1]
	s_clause 0x1
	global_load_b128 v[24:27], v[12:13], off offset:1408
	global_load_b128 v[20:23], v[12:13], off offset:1424
	s_wait_loadcnt_dscnt 0x100
	v_mul_f64_e32 v[0:1], v[10:11], v[26:27]
	scratch_store_b128 off, v[24:27], off offset:280 ; 16-byte Folded Spill
	v_fma_f64 v[164:165], v[8:9], v[24:25], -v[0:1]
	v_mul_f64_e32 v[0:1], v[8:9], v[26:27]
	s_delay_alu instid0(VALU_DEP_1)
	v_fma_f64 v[166:167], v[10:11], v[24:25], v[0:1]
	ds_load_b128 v[0:3], v255 offset:8736
	ds_load_b128 v[8:11], v255 offset:10192
	s_wait_loadcnt 0x0
	scratch_store_b128 off, v[20:23], off offset:232 ; 16-byte Folded Spill
	s_wait_dscnt 0x1
	v_mul_f64_e32 v[18:19], v[2:3], v[22:23]
	s_delay_alu instid0(VALU_DEP_1) | instskip(SKIP_1) | instid1(VALU_DEP_1)
	v_fma_f64 v[168:169], v[0:1], v[20:21], -v[18:19]
	v_mul_f64_e32 v[0:1], v[0:1], v[22:23]
	v_fma_f64 v[170:171], v[2:3], v[20:21], v[0:1]
	s_clause 0x1
	global_load_b128 v[24:27], v[12:13], off offset:1440
	global_load_b128 v[20:23], v[12:13], off offset:1456
	s_wait_loadcnt_dscnt 0x100
	v_mul_f64_e32 v[0:1], v[10:11], v[26:27]
	scratch_store_b128 off, v[24:27], off offset:296 ; 16-byte Folded Spill
	v_fma_f64 v[172:173], v[8:9], v[24:25], -v[0:1]
	v_mul_f64_e32 v[0:1], v[8:9], v[26:27]
	s_delay_alu instid0(VALU_DEP_1)
	v_fma_f64 v[174:175], v[10:11], v[24:25], v[0:1]
	ds_load_b128 v[0:3], v255 offset:11648
	ds_load_b128 v[8:11], v255 offset:13104
	s_wait_loadcnt 0x0
	scratch_store_b128 off, v[20:23], off offset:264 ; 16-byte Folded Spill
	s_clause 0x1
	global_load_b128 v[112:115], v[12:13], off offset:1472
	global_load_b128 v[116:119], v[12:13], off offset:1488
	s_wait_dscnt 0x1
	v_mul_f64_e32 v[18:19], v[2:3], v[22:23]
	v_add_f64_e64 v[217:218], v[170:171], -v[174:175]
	v_add_f64_e32 v[24:25], v[170:171], v[174:175]
	s_delay_alu instid0(VALU_DEP_3) | instskip(SKIP_1) | instid1(VALU_DEP_4)
	v_fma_f64 v[176:177], v[0:1], v[20:21], -v[18:19]
	v_mul_f64_e32 v[0:1], v[0:1], v[22:23]
	v_mul_f64_e32 v[36:37], s[36:37], v[217:218]
	s_delay_alu instid0(VALU_DEP_2) | instskip(SKIP_3) | instid1(VALU_DEP_1)
	v_fma_f64 v[178:179], v[2:3], v[20:21], v[0:1]
	v_mul_f64_e32 v[20:21], s[28:29], v[217:218]
	s_wait_loadcnt_dscnt 0x100
	v_mul_f64_e32 v[0:1], v[10:11], v[114:115]
	v_fma_f64 v[183:184], v[8:9], v[112:113], -v[0:1]
	v_mul_f64_e32 v[0:1], v[8:9], v[114:115]
	s_delay_alu instid0(VALU_DEP_2) | instskip(NEXT) | instid1(VALU_DEP_2)
	v_add_f64_e32 v[251:252], v[160:161], v[183:184]
	v_fma_f64 v[185:186], v[10:11], v[112:113], v[0:1]
	ds_load_b128 v[0:3], v255 offset:14560
	ds_load_b128 v[8:11], v255 offset:16016
	s_clause 0x1
	global_load_b128 v[120:123], v[12:13], off offset:1504
	global_load_b128 v[124:127], v[12:13], off offset:1520
	s_wait_loadcnt_dscnt 0x201
	v_mul_f64_e32 v[18:19], v[2:3], v[118:119]
	s_delay_alu instid0(VALU_DEP_1) | instskip(SKIP_1) | instid1(VALU_DEP_2)
	v_fma_f64 v[187:188], v[0:1], v[116:117], -v[18:19]
	v_mul_f64_e32 v[0:1], v[0:1], v[118:119]
	v_add_f64_e32 v[219:220], v[156:157], v[187:188]
	s_delay_alu instid0(VALU_DEP_2) | instskip(SKIP_1) | instid1(VALU_DEP_2)
	v_fma_f64 v[189:190], v[2:3], v[116:117], v[0:1]
	v_add_f64_e64 v[245:246], v[156:157], -v[187:188]
	v_add_f64_e64 v[243:244], v[158:159], -v[189:190]
	v_add_f64_e32 v[223:224], v[158:159], v[189:190]
	s_delay_alu instid0(VALU_DEP_3) | instskip(NEXT) | instid1(VALU_DEP_3)
	v_mul_f64_e32 v[225:226], s[26:27], v[245:246]
	v_mul_f64_e32 v[221:222], s[26:27], v[243:244]
	;; [unrolled: 1-line block ×3, first 2 shown]
	s_delay_alu instid0(VALU_DEP_1) | instskip(SKIP_3) | instid1(VALU_DEP_1)
	v_fma_f64 v[66:67], v[219:220], s[0:1], -v[64:65]
	v_fma_f64 v[64:65], v[219:220], s[0:1], v[64:65]
	s_wait_loadcnt_dscnt 0x100
	v_mul_f64_e32 v[0:1], v[10:11], v[122:123]
	v_fma_f64 v[191:192], v[8:9], v[120:121], -v[0:1]
	v_mul_f64_e32 v[0:1], v[8:9], v[122:123]
	s_delay_alu instid0(VALU_DEP_2) | instskip(NEXT) | instid1(VALU_DEP_2)
	v_add_f64_e64 v[233:234], v[148:149], -v[191:192]
	v_fma_f64 v[193:194], v[10:11], v[120:121], v[0:1]
	ds_load_b128 v[0:3], v255 offset:17472
	s_wait_loadcnt_dscnt 0x0
	v_mul_f64_e32 v[8:9], v[0:1], v[126:127]
	v_mul_f64_e32 v[180:181], s[20:21], v[233:234]
	v_add_f64_e64 v[231:232], v[150:151], -v[193:194]
	s_delay_alu instid0(VALU_DEP_3) | instskip(SKIP_1) | instid1(VALU_DEP_2)
	v_fma_f64 v[195:196], v[2:3], v[124:125], v[8:9]
	v_mul_f64_e32 v[2:3], v[2:3], v[126:127]
	v_add_f64_e32 v[199:200], v[16:17], v[195:196]
	s_delay_alu instid0(VALU_DEP_2) | instskip(SKIP_1) | instid1(VALU_DEP_2)
	v_fma_f64 v[197:198], v[0:1], v[124:125], -v[2:3]
	v_add_f64_e64 v[0:1], v[16:17], -v[195:196]
	v_add_f64_e32 v[128:129], v[14:15], v[197:198]
	s_delay_alu instid0(VALU_DEP_2)
	v_mul_f64_e32 v[2:3], s[44:45], v[0:1]
	v_mul_f64_e32 v[8:9], s[24:25], v[0:1]
	;; [unrolled: 1-line block ×6, first 2 shown]
	v_fma_f64 v[130:131], v[128:129], s[18:19], -v[2:3]
	v_fma_f64 v[2:3], v[128:129], s[18:19], v[2:3]
	v_fma_f64 v[132:133], v[128:129], s[14:15], -v[8:9]
	v_fma_f64 v[8:9], v[128:129], s[14:15], v[8:9]
	v_fma_f64 v[134:135], v[128:129], s[16:17], -v[10:11]
	v_fma_f64 v[10:11], v[128:129], s[16:17], v[10:11]
	v_fma_f64 v[136:137], v[128:129], s[8:9], -v[12:13]
	v_fma_f64 v[12:13], v[128:129], s[8:9], v[12:13]
	v_fma_f64 v[140:141], v[128:129], s[2:3], -v[18:19]
	v_fma_f64 v[18:19], v[128:129], s[2:3], v[18:19]
	v_fma_f64 v[144:145], v[128:129], s[0:1], -v[0:1]
	v_fma_f64 v[0:1], v[128:129], s[0:1], v[0:1]
	v_add_f64_e64 v[128:129], v[14:15], -v[197:198]
	v_add_f64_e32 v[14:15], v[4:5], v[130:131]
	v_add_f64_e32 v[80:81], v[4:5], v[2:3]
	v_add_f64_e32 v[249:250], v[4:5], v[132:133]
	v_add_f64_e32 v[130:131], v[4:5], v[8:9]
	v_add_f64_e32 v[241:242], v[4:5], v[134:135]
	v_add_f64_e32 v[134:135], v[4:5], v[10:11]
	v_add_f64_e32 v[237:238], v[4:5], v[136:137]
	v_add_f64_e64 v[8:9], v[162:163], -v[185:186]
	v_add_f64_e32 v[229:230], v[4:5], v[140:141]
	v_add_f64_e64 v[10:11], v[160:161], -v[183:184]
	v_add_f64_e32 v[144:145], v[4:5], v[144:145]
	v_mul_f64_e32 v[146:147], s[26:27], v[128:129]
	v_mul_f64_e32 v[152:153], s[20:21], v[128:129]
	;; [unrolled: 1-line block ×8, first 2 shown]
	v_fma_f64 v[207:208], v[199:200], s[16:17], v[146:147]
	v_fma_f64 v[209:210], v[199:200], s[8:9], v[152:153]
	v_fma_f64 v[146:147], v[199:200], s[16:17], -v[146:147]
	v_fma_f64 v[205:206], v[199:200], s[14:15], v[142:143]
	v_fma_f64 v[142:143], v[199:200], s[14:15], -v[142:143]
	v_fma_f64 v[211:212], v[199:200], s[2:3], v[154:155]
	v_fma_f64 v[213:214], v[199:200], s[0:1], v[128:129]
	;; [unrolled: 1-line block ×3, first 2 shown]
	v_fma_f64 v[138:139], v[199:200], s[18:19], -v[138:139]
	v_fma_f64 v[152:153], v[199:200], s[8:9], -v[152:153]
	;; [unrolled: 1-line block ×5, first 2 shown]
	v_fma_f64 v[28:29], v[251:252], s[2:3], v[28:29]
	v_add_f64_e32 v[239:240], v[6:7], v[207:208]
	v_add_f64_e32 v[235:236], v[6:7], v[209:210]
	;; [unrolled: 1-line block ×3, first 2 shown]
	v_mul_f64_e32 v[209:210], s[24:25], v[231:232]
	v_add_f64_e32 v[128:129], v[6:7], v[142:143]
	v_add_f64_e32 v[132:133], v[6:7], v[146:147]
	;; [unrolled: 1-line block ×7, first 2 shown]
	v_mul_f64_e32 v[213:214], s[24:25], v[233:234]
	v_add_f64_e32 v[16:17], v[6:7], v[203:204]
	v_add_f64_e32 v[82:83], v[6:7], v[138:139]
	;; [unrolled: 1-line block ×3, first 2 shown]
	v_fma_f64 v[4:5], v[219:220], s[16:17], -v[221:222]
	v_add_f64_e32 v[247:248], v[6:7], v[205:206]
	v_add_f64_e32 v[136:137], v[6:7], v[152:153]
	;; [unrolled: 1-line block ×5, first 2 shown]
	v_fma_f64 v[0:1], v[207:208], s[14:15], -v[209:210]
	v_fma_f64 v[2:3], v[211:212], s[14:15], v[213:214]
	s_delay_alu instid0(VALU_DEP_2) | instskip(SKIP_1) | instid1(VALU_DEP_3)
	v_add_f64_e32 v[0:1], v[0:1], v[14:15]
	v_add_f64_e64 v[14:15], v[166:167], -v[178:179]
	v_add_f64_e32 v[2:3], v[2:3], v[16:17]
	v_add_f64_e64 v[16:17], v[164:165], -v[176:177]
	s_delay_alu instid0(VALU_DEP_4) | instskip(SKIP_3) | instid1(VALU_DEP_3)
	v_add_f64_e32 v[0:1], v[4:5], v[0:1]
	v_fma_f64 v[4:5], v[223:224], s[16:17], v[225:226]
	v_mul_f64_e32 v[205:206], s[22:23], v[14:15]
	v_mul_f64_e32 v[32:33], s[34:35], v[14:15]
	v_add_f64_e32 v[4:5], v[4:5], v[2:3]
	v_fma_f64 v[2:3], v[251:252], s[8:9], -v[253:254]
	s_delay_alu instid0(VALU_DEP_3) | instskip(SKIP_1) | instid1(VALU_DEP_3)
	v_fma_f64 v[34:35], v[203:204], s[16:17], -v[32:33]
	v_fma_f64 v[32:33], v[203:204], s[16:17], v[32:33]
	v_add_f64_e32 v[6:7], v[2:3], v[0:1]
	v_add_f64_e32 v[0:1], v[162:163], v[185:186]
	v_mul_f64_e32 v[2:3], s[20:21], v[10:11]
	s_delay_alu instid0(VALU_DEP_1) | instskip(NEXT) | instid1(VALU_DEP_1)
	v_fma_f64 v[12:13], v[0:1], s[8:9], v[2:3]
	v_add_f64_e32 v[12:13], v[12:13], v[4:5]
	v_fma_f64 v[4:5], v[203:204], s[2:3], -v[205:206]
	s_delay_alu instid0(VALU_DEP_1) | instskip(SKIP_2) | instid1(VALU_DEP_1)
	v_add_f64_e32 v[152:153], v[4:5], v[6:7]
	v_add_f64_e32 v[4:5], v[166:167], v[178:179]
	v_mul_f64_e32 v[6:7], s[22:23], v[16:17]
	v_fma_f64 v[154:155], v[4:5], s[2:3], v[6:7]
	s_delay_alu instid0(VALU_DEP_1) | instskip(SKIP_1) | instid1(VALU_DEP_1)
	v_add_f64_e32 v[154:155], v[154:155], v[12:13]
	v_add_f64_e32 v[12:13], v[168:169], v[172:173]
	v_fma_f64 v[22:23], v[12:13], s[0:1], -v[20:21]
	v_fma_f64 v[38:39], v[12:13], s[18:19], -v[36:37]
	s_delay_alu instid0(VALU_DEP_2) | instskip(SKIP_1) | instid1(VALU_DEP_1)
	v_add_f64_e32 v[152:153], v[22:23], v[152:153]
	v_add_f64_e64 v[22:23], v[168:169], -v[172:173]
	v_mul_f64_e32 v[26:27], s[28:29], v[22:23]
	s_delay_alu instid0(VALU_DEP_1) | instskip(NEXT) | instid1(VALU_DEP_1)
	v_fma_f64 v[201:202], v[24:25], s[0:1], v[26:27]
	v_add_f64_e32 v[154:155], v[201:202], v[154:155]
	v_mul_f64_e32 v[201:202], s[20:21], v[231:232]
	s_delay_alu instid0(VALU_DEP_1) | instskip(NEXT) | instid1(VALU_DEP_1)
	v_fma_f64 v[199:200], v[207:208], s[8:9], -v[201:202]
	v_add_f64_e32 v[199:200], v[199:200], v[249:250]
	v_fma_f64 v[249:250], v[211:212], s[8:9], v[180:181]
	s_delay_alu instid0(VALU_DEP_2) | instskip(SKIP_1) | instid1(VALU_DEP_3)
	v_add_f64_e32 v[66:67], v[66:67], v[199:200]
	v_mul_f64_e32 v[199:200], s[28:29], v[245:246]
	v_add_f64_e32 v[247:248], v[249:250], v[247:248]
	s_delay_alu instid0(VALU_DEP_3) | instskip(NEXT) | instid1(VALU_DEP_3)
	v_add_f64_e32 v[30:31], v[30:31], v[66:67]
	v_fma_f64 v[249:250], v[223:224], s[0:1], v[199:200]
	v_mul_f64_e32 v[66:67], s[38:39], v[10:11]
	s_delay_alu instid0(VALU_DEP_3) | instskip(NEXT) | instid1(VALU_DEP_3)
	v_add_f64_e32 v[30:31], v[34:35], v[30:31]
	v_add_f64_e32 v[247:248], v[249:250], v[247:248]
	s_delay_alu instid0(VALU_DEP_3) | instskip(SKIP_1) | instid1(VALU_DEP_2)
	v_fma_f64 v[249:250], v[0:1], s[2:3], v[66:67]
	v_mul_f64_e32 v[34:35], s[34:35], v[16:17]
	v_add_f64_e32 v[247:248], v[249:250], v[247:248]
	s_delay_alu instid0(VALU_DEP_2) | instskip(NEXT) | instid1(VALU_DEP_1)
	v_fma_f64 v[249:250], v[4:5], s[16:17], v[34:35]
	v_add_f64_e32 v[249:250], v[249:250], v[247:248]
	v_add_f64_e32 v[247:248], v[38:39], v[30:31]
	v_mul_f64_e32 v[30:31], s[36:37], v[22:23]
	s_delay_alu instid0(VALU_DEP_1) | instskip(SKIP_1) | instid1(VALU_DEP_2)
	v_fma_f64 v[38:39], v[24:25], s[18:19], v[30:31]
	v_fma_f64 v[30:31], v[24:25], s[18:19], -v[30:31]
	v_add_f64_e32 v[249:250], v[38:39], v[249:250]
	v_fma_f64 v[38:39], v[207:208], s[8:9], v[201:202]
	s_delay_alu instid0(VALU_DEP_1) | instskip(SKIP_1) | instid1(VALU_DEP_2)
	v_add_f64_e32 v[38:39], v[38:39], v[130:131]
	v_fma_f64 v[130:131], v[211:212], s[8:9], -v[180:181]
	v_add_f64_e32 v[38:39], v[64:65], v[38:39]
	s_delay_alu instid0(VALU_DEP_2) | instskip(SKIP_1) | instid1(VALU_DEP_3)
	v_add_f64_e32 v[128:129], v[130:131], v[128:129]
	v_fma_f64 v[64:65], v[223:224], s[0:1], -v[199:200]
	v_add_f64_e32 v[28:29], v[28:29], v[38:39]
	v_fma_f64 v[38:39], v[0:1], s[2:3], -v[66:67]
	s_delay_alu instid0(VALU_DEP_3) | instskip(NEXT) | instid1(VALU_DEP_3)
	v_add_f64_e32 v[64:65], v[64:65], v[128:129]
	v_add_f64_e32 v[28:29], v[32:33], v[28:29]
	v_fma_f64 v[32:33], v[4:5], s[16:17], -v[34:35]
	s_delay_alu instid0(VALU_DEP_3) | instskip(SKIP_2) | instid1(VALU_DEP_3)
	v_add_f64_e32 v[38:39], v[38:39], v[64:65]
	v_fma_f64 v[34:35], v[12:13], s[18:19], v[36:37]
	v_mul_f64_e32 v[36:37], s[46:47], v[243:244]
	v_add_f64_e32 v[32:33], v[32:33], v[38:39]
	s_delay_alu instid0(VALU_DEP_3) | instskip(SKIP_1) | instid1(VALU_DEP_4)
	v_add_f64_e32 v[128:129], v[34:35], v[28:29]
	v_mul_f64_e32 v[28:29], s[28:29], v[231:232]
	v_fma_f64 v[38:39], v[219:220], s[8:9], -v[36:37]
	s_delay_alu instid0(VALU_DEP_4) | instskip(SKIP_1) | instid1(VALU_DEP_4)
	v_add_f64_e32 v[130:131], v[30:31], v[32:33]
	v_mul_f64_e32 v[32:33], s[28:29], v[233:234]
	v_fma_f64 v[30:31], v[207:208], s[0:1], -v[28:29]
	v_fma_f64 v[28:29], v[207:208], s[0:1], v[28:29]
	s_delay_alu instid0(VALU_DEP_3) | instskip(NEXT) | instid1(VALU_DEP_3)
	v_fma_f64 v[34:35], v[211:212], s[0:1], v[32:33]
	v_add_f64_e32 v[30:31], v[30:31], v[241:242]
	s_delay_alu instid0(VALU_DEP_3) | instskip(SKIP_1) | instid1(VALU_DEP_4)
	v_add_f64_e32 v[28:29], v[28:29], v[134:135]
	v_fma_f64 v[32:33], v[211:212], s[0:1], -v[32:33]
	v_add_f64_e32 v[34:35], v[34:35], v[239:240]
	s_delay_alu instid0(VALU_DEP_4) | instskip(SKIP_1) | instid1(VALU_DEP_4)
	v_add_f64_e32 v[30:31], v[38:39], v[30:31]
	v_mul_f64_e32 v[38:39], s[46:47], v[245:246]
	v_add_f64_e32 v[32:33], v[32:33], v[132:133]
	s_delay_alu instid0(VALU_DEP_2) | instskip(NEXT) | instid1(VALU_DEP_1)
	v_fma_f64 v[64:65], v[223:224], s[8:9], v[38:39]
	v_add_f64_e32 v[34:35], v[64:65], v[34:35]
	v_mul_f64_e32 v[64:65], s[36:37], v[8:9]
	s_delay_alu instid0(VALU_DEP_1) | instskip(NEXT) | instid1(VALU_DEP_1)
	v_fma_f64 v[66:67], v[251:252], s[18:19], -v[64:65]
	v_add_f64_e32 v[30:31], v[66:67], v[30:31]
	v_mul_f64_e32 v[66:67], s[36:37], v[10:11]
	s_delay_alu instid0(VALU_DEP_1) | instskip(NEXT) | instid1(VALU_DEP_1)
	v_fma_f64 v[180:181], v[0:1], s[18:19], v[66:67]
	v_add_f64_e32 v[34:35], v[180:181], v[34:35]
	v_mul_f64_e32 v[180:181], s[24:25], v[14:15]
	s_delay_alu instid0(VALU_DEP_1) | instskip(NEXT) | instid1(VALU_DEP_1)
	v_fma_f64 v[199:200], v[203:204], s[14:15], -v[180:181]
	v_add_f64_e32 v[30:31], v[199:200], v[30:31]
	v_mul_f64_e32 v[199:200], s[24:25], v[16:17]
	s_delay_alu instid0(VALU_DEP_1) | instskip(NEXT) | instid1(VALU_DEP_1)
	v_fma_f64 v[201:202], v[4:5], s[14:15], v[199:200]
	v_add_f64_e32 v[34:35], v[201:202], v[34:35]
	v_mul_f64_e32 v[201:202], s[22:23], v[217:218]
	s_delay_alu instid0(VALU_DEP_1) | instskip(NEXT) | instid1(VALU_DEP_1)
	v_fma_f64 v[239:240], v[12:13], s[2:3], -v[201:202]
	v_add_f64_e32 v[239:240], v[239:240], v[30:31]
	v_mul_f64_e32 v[30:31], s[22:23], v[22:23]
	s_delay_alu instid0(VALU_DEP_1) | instskip(SKIP_1) | instid1(VALU_DEP_2)
	v_fma_f64 v[241:242], v[24:25], s[2:3], v[30:31]
	v_fma_f64 v[30:31], v[24:25], s[2:3], -v[30:31]
	v_add_f64_e32 v[241:242], v[241:242], v[34:35]
	v_fma_f64 v[34:35], v[219:220], s[8:9], v[36:37]
	v_mul_f64_e32 v[36:37], s[36:37], v[243:244]
	s_delay_alu instid0(VALU_DEP_2) | instskip(SKIP_1) | instid1(VALU_DEP_3)
	v_add_f64_e32 v[28:29], v[34:35], v[28:29]
	v_fma_f64 v[34:35], v[223:224], s[8:9], -v[38:39]
	v_fma_f64 v[38:39], v[219:220], s[18:19], -v[36:37]
	s_delay_alu instid0(VALU_DEP_2) | instskip(SKIP_1) | instid1(VALU_DEP_1)
	v_add_f64_e32 v[32:33], v[34:35], v[32:33]
	v_fma_f64 v[34:35], v[251:252], s[18:19], v[64:65]
	v_add_f64_e32 v[28:29], v[34:35], v[28:29]
	v_fma_f64 v[34:35], v[0:1], s[18:19], -v[66:67]
	s_delay_alu instid0(VALU_DEP_1) | instskip(SKIP_1) | instid1(VALU_DEP_1)
	v_add_f64_e32 v[32:33], v[34:35], v[32:33]
	v_fma_f64 v[34:35], v[203:204], s[14:15], v[180:181]
	v_add_f64_e32 v[28:29], v[34:35], v[28:29]
	v_fma_f64 v[34:35], v[4:5], s[14:15], -v[199:200]
	s_delay_alu instid0(VALU_DEP_1) | instskip(SKIP_1) | instid1(VALU_DEP_2)
	v_add_f64_e32 v[32:33], v[34:35], v[32:33]
	v_fma_f64 v[34:35], v[12:13], s[2:3], v[201:202]
	v_add_f64_e32 v[134:135], v[30:31], v[32:33]
	s_delay_alu instid0(VALU_DEP_2) | instskip(SKIP_2) | instid1(VALU_DEP_2)
	v_add_f64_e32 v[132:133], v[34:35], v[28:29]
	v_mul_f64_e32 v[28:29], s[38:39], v[231:232]
	v_mul_f64_e32 v[32:33], s[38:39], v[233:234]
	v_fma_f64 v[30:31], v[207:208], s[2:3], -v[28:29]
	s_delay_alu instid0(VALU_DEP_2) | instskip(SKIP_2) | instid1(VALU_DEP_4)
	v_fma_f64 v[34:35], v[211:212], s[2:3], v[32:33]
	v_fma_f64 v[28:29], v[207:208], s[2:3], v[28:29]
	v_fma_f64 v[32:33], v[211:212], s[2:3], -v[32:33]
	v_add_f64_e32 v[30:31], v[30:31], v[237:238]
	s_delay_alu instid0(VALU_DEP_4) | instskip(NEXT) | instid1(VALU_DEP_4)
	v_add_f64_e32 v[34:35], v[34:35], v[235:236]
	v_add_f64_e32 v[28:29], v[28:29], v[138:139]
	s_delay_alu instid0(VALU_DEP_4) | instskip(NEXT) | instid1(VALU_DEP_4)
	v_add_f64_e32 v[32:33], v[32:33], v[136:137]
	v_add_f64_e32 v[30:31], v[38:39], v[30:31]
	v_mul_f64_e32 v[38:39], s[36:37], v[245:246]
	s_delay_alu instid0(VALU_DEP_1) | instskip(NEXT) | instid1(VALU_DEP_1)
	v_fma_f64 v[64:65], v[223:224], s[18:19], v[38:39]
	v_add_f64_e32 v[34:35], v[64:65], v[34:35]
	v_mul_f64_e32 v[64:65], s[26:27], v[8:9]
	s_delay_alu instid0(VALU_DEP_1) | instskip(NEXT) | instid1(VALU_DEP_1)
	v_fma_f64 v[66:67], v[251:252], s[16:17], -v[64:65]
	v_add_f64_e32 v[30:31], v[66:67], v[30:31]
	v_mul_f64_e32 v[66:67], s[26:27], v[10:11]
	s_delay_alu instid0(VALU_DEP_1) | instskip(NEXT) | instid1(VALU_DEP_1)
	v_fma_f64 v[180:181], v[0:1], s[16:17], v[66:67]
	v_add_f64_e32 v[34:35], v[180:181], v[34:35]
	v_mul_f64_e32 v[180:181], s[42:43], v[14:15]
	s_delay_alu instid0(VALU_DEP_1) | instskip(NEXT) | instid1(VALU_DEP_1)
	v_fma_f64 v[199:200], v[203:204], s[0:1], -v[180:181]
	;; [unrolled: 8-line block ×3, first 2 shown]
	v_add_f64_e32 v[235:236], v[235:236], v[30:31]
	v_mul_f64_e32 v[30:31], s[40:41], v[22:23]
	s_delay_alu instid0(VALU_DEP_1) | instskip(SKIP_1) | instid1(VALU_DEP_2)
	v_fma_f64 v[237:238], v[24:25], s[14:15], v[30:31]
	v_fma_f64 v[30:31], v[24:25], s[14:15], -v[30:31]
	v_add_f64_e32 v[237:238], v[237:238], v[34:35]
	v_fma_f64 v[34:35], v[219:220], s[18:19], v[36:37]
	v_mul_f64_e32 v[36:37], s[24:25], v[243:244]
	s_delay_alu instid0(VALU_DEP_2) | instskip(SKIP_1) | instid1(VALU_DEP_3)
	v_add_f64_e32 v[28:29], v[34:35], v[28:29]
	v_fma_f64 v[34:35], v[223:224], s[18:19], -v[38:39]
	v_fma_f64 v[38:39], v[219:220], s[14:15], -v[36:37]
	s_delay_alu instid0(VALU_DEP_2) | instskip(SKIP_1) | instid1(VALU_DEP_1)
	v_add_f64_e32 v[32:33], v[34:35], v[32:33]
	v_fma_f64 v[34:35], v[251:252], s[16:17], v[64:65]
	v_add_f64_e32 v[28:29], v[34:35], v[28:29]
	v_fma_f64 v[34:35], v[0:1], s[16:17], -v[66:67]
	s_delay_alu instid0(VALU_DEP_1) | instskip(SKIP_1) | instid1(VALU_DEP_1)
	v_add_f64_e32 v[32:33], v[34:35], v[32:33]
	v_fma_f64 v[34:35], v[203:204], s[0:1], v[180:181]
	v_add_f64_e32 v[28:29], v[34:35], v[28:29]
	v_fma_f64 v[34:35], v[4:5], s[0:1], -v[199:200]
	s_delay_alu instid0(VALU_DEP_1) | instskip(SKIP_1) | instid1(VALU_DEP_2)
	v_add_f64_e32 v[32:33], v[34:35], v[32:33]
	v_fma_f64 v[34:35], v[12:13], s[14:15], v[201:202]
	v_add_f64_e32 v[138:139], v[30:31], v[32:33]
	s_delay_alu instid0(VALU_DEP_2) | instskip(SKIP_2) | instid1(VALU_DEP_2)
	v_add_f64_e32 v[136:137], v[34:35], v[28:29]
	v_mul_f64_e32 v[28:29], s[34:35], v[231:232]
	v_mul_f64_e32 v[32:33], s[34:35], v[233:234]
	v_fma_f64 v[30:31], v[207:208], s[16:17], -v[28:29]
	s_delay_alu instid0(VALU_DEP_2) | instskip(SKIP_2) | instid1(VALU_DEP_4)
	v_fma_f64 v[34:35], v[211:212], s[16:17], v[32:33]
	v_fma_f64 v[28:29], v[207:208], s[16:17], v[28:29]
	v_fma_f64 v[32:33], v[211:212], s[16:17], -v[32:33]
	v_add_f64_e32 v[30:31], v[30:31], v[229:230]
	s_delay_alu instid0(VALU_DEP_4) | instskip(NEXT) | instid1(VALU_DEP_4)
	v_add_f64_e32 v[34:35], v[34:35], v[227:228]
	v_add_f64_e32 v[28:29], v[28:29], v[142:143]
	s_delay_alu instid0(VALU_DEP_4) | instskip(NEXT) | instid1(VALU_DEP_4)
	v_add_f64_e32 v[32:33], v[32:33], v[140:141]
	v_add_f64_e32 v[30:31], v[38:39], v[30:31]
	v_mul_f64_e32 v[38:39], s[24:25], v[245:246]
	s_delay_alu instid0(VALU_DEP_1) | instskip(NEXT) | instid1(VALU_DEP_1)
	v_fma_f64 v[64:65], v[223:224], s[14:15], v[38:39]
	v_add_f64_e32 v[34:35], v[64:65], v[34:35]
	v_mul_f64_e32 v[64:65], s[42:43], v[8:9]
	s_delay_alu instid0(VALU_DEP_1) | instskip(NEXT) | instid1(VALU_DEP_1)
	v_fma_f64 v[66:67], v[251:252], s[0:1], -v[64:65]
	v_add_f64_e32 v[30:31], v[66:67], v[30:31]
	v_mul_f64_e32 v[66:67], s[42:43], v[10:11]
	s_delay_alu instid0(VALU_DEP_1) | instskip(NEXT) | instid1(VALU_DEP_1)
	v_fma_f64 v[180:181], v[0:1], s[0:1], v[66:67]
	v_add_f64_e32 v[34:35], v[180:181], v[34:35]
	v_mul_f64_e32 v[180:181], s[36:37], v[14:15]
	v_mul_f64_e32 v[14:15], s[20:21], v[14:15]
	s_delay_alu instid0(VALU_DEP_2) | instskip(NEXT) | instid1(VALU_DEP_1)
	v_fma_f64 v[199:200], v[203:204], s[18:19], -v[180:181]
	v_add_f64_e32 v[30:31], v[199:200], v[30:31]
	v_mul_f64_e32 v[199:200], s[36:37], v[16:17]
	v_mul_f64_e32 v[16:17], s[20:21], v[16:17]
	s_delay_alu instid0(VALU_DEP_2) | instskip(NEXT) | instid1(VALU_DEP_1)
	v_fma_f64 v[201:202], v[4:5], s[18:19], v[199:200]
	v_add_f64_e32 v[34:35], v[201:202], v[34:35]
	v_mul_f64_e32 v[201:202], s[20:21], v[217:218]
	s_delay_alu instid0(VALU_DEP_1) | instskip(NEXT) | instid1(VALU_DEP_1)
	v_fma_f64 v[227:228], v[12:13], s[8:9], -v[201:202]
	v_add_f64_e32 v[227:228], v[227:228], v[30:31]
	v_mul_f64_e32 v[30:31], s[20:21], v[22:23]
	v_mul_f64_e32 v[22:23], s[34:35], v[22:23]
	s_delay_alu instid0(VALU_DEP_2) | instskip(SKIP_1) | instid1(VALU_DEP_2)
	v_fma_f64 v[229:230], v[24:25], s[8:9], v[30:31]
	v_fma_f64 v[30:31], v[24:25], s[8:9], -v[30:31]
	v_add_f64_e32 v[229:230], v[229:230], v[34:35]
	v_fma_f64 v[34:35], v[219:220], s[14:15], v[36:37]
	s_delay_alu instid0(VALU_DEP_1) | instskip(SKIP_1) | instid1(VALU_DEP_1)
	v_add_f64_e32 v[28:29], v[34:35], v[28:29]
	v_fma_f64 v[34:35], v[223:224], s[14:15], -v[38:39]
	v_add_f64_e32 v[32:33], v[34:35], v[32:33]
	v_fma_f64 v[34:35], v[251:252], s[0:1], v[64:65]
	s_delay_alu instid0(VALU_DEP_1) | instskip(SKIP_1) | instid1(VALU_DEP_1)
	v_add_f64_e32 v[28:29], v[34:35], v[28:29]
	v_fma_f64 v[34:35], v[0:1], s[0:1], -v[66:67]
	v_add_f64_e32 v[32:33], v[34:35], v[32:33]
	v_fma_f64 v[34:35], v[203:204], s[18:19], v[180:181]
	s_delay_alu instid0(VALU_DEP_1) | instskip(SKIP_1) | instid1(VALU_DEP_1)
	v_add_f64_e32 v[28:29], v[34:35], v[28:29]
	v_fma_f64 v[34:35], v[4:5], s[18:19], -v[199:200]
	v_add_f64_e32 v[32:33], v[34:35], v[32:33]
	v_fma_f64 v[34:35], v[12:13], s[8:9], v[201:202]
	s_delay_alu instid0(VALU_DEP_2) | instskip(SKIP_1) | instid1(VALU_DEP_3)
	v_add_f64_e32 v[142:143], v[30:31], v[32:33]
	v_mul_f64_e32 v[32:33], s[36:37], v[233:234]
	v_add_f64_e32 v[140:141], v[34:35], v[28:29]
	v_mul_f64_e32 v[28:29], s[36:37], v[231:232]
	s_delay_alu instid0(VALU_DEP_3) | instskip(SKIP_1) | instid1(VALU_DEP_3)
	v_fma_f64 v[34:35], v[211:212], s[18:19], v[32:33]
	v_fma_f64 v[32:33], v[211:212], s[18:19], -v[32:33]
	v_fma_f64 v[30:31], v[207:208], s[18:19], -v[28:29]
	v_fma_f64 v[28:29], v[207:208], s[18:19], v[28:29]
	s_delay_alu instid0(VALU_DEP_4) | instskip(SKIP_1) | instid1(VALU_DEP_4)
	v_add_f64_e32 v[18:19], v[34:35], v[18:19]
	v_mul_f64_e32 v[34:35], s[22:23], v[243:244]
	v_add_f64_e32 v[30:31], v[30:31], v[144:145]
	s_delay_alu instid0(VALU_DEP_4) | instskip(SKIP_1) | instid1(VALU_DEP_4)
	v_add_f64_e32 v[28:29], v[28:29], v[146:147]
	v_add_f64_e32 v[32:33], v[32:33], v[88:89]
	v_fma_f64 v[36:37], v[219:220], s[2:3], -v[34:35]
	v_fma_f64 v[34:35], v[219:220], s[2:3], v[34:35]
	s_delay_alu instid0(VALU_DEP_2) | instskip(SKIP_1) | instid1(VALU_DEP_3)
	v_add_f64_e32 v[30:31], v[36:37], v[30:31]
	v_mul_f64_e32 v[36:37], s[22:23], v[245:246]
	v_add_f64_e32 v[28:29], v[34:35], v[28:29]
	s_delay_alu instid0(VALU_DEP_2) | instskip(SKIP_1) | instid1(VALU_DEP_2)
	v_fma_f64 v[38:39], v[223:224], s[2:3], v[36:37]
	v_fma_f64 v[34:35], v[223:224], s[2:3], -v[36:37]
	v_add_f64_e32 v[18:19], v[38:39], v[18:19]
	v_mul_f64_e32 v[38:39], s[40:41], v[8:9]
	s_delay_alu instid0(VALU_DEP_3) | instskip(NEXT) | instid1(VALU_DEP_2)
	v_add_f64_e32 v[32:33], v[34:35], v[32:33]
	v_fma_f64 v[8:9], v[251:252], s[14:15], -v[38:39]
	v_fma_f64 v[34:35], v[251:252], s[14:15], v[38:39]
	s_delay_alu instid0(VALU_DEP_2) | instskip(SKIP_1) | instid1(VALU_DEP_3)
	v_add_f64_e32 v[8:9], v[8:9], v[30:31]
	v_mul_f64_e32 v[30:31], s[40:41], v[10:11]
	v_add_f64_e32 v[28:29], v[34:35], v[28:29]
	s_delay_alu instid0(VALU_DEP_2) | instskip(SKIP_2) | instid1(VALU_DEP_3)
	v_fma_f64 v[10:11], v[0:1], s[14:15], v[30:31]
	v_fma_f64 v[30:31], v[0:1], s[14:15], -v[30:31]
	v_fma_f64 v[0:1], v[0:1], s[8:9], -v[2:3]
	v_add_f64_e32 v[10:11], v[10:11], v[18:19]
	v_fma_f64 v[18:19], v[203:204], s[8:9], -v[14:15]
	s_delay_alu instid0(VALU_DEP_4) | instskip(SKIP_2) | instid1(VALU_DEP_4)
	v_add_f64_e32 v[30:31], v[30:31], v[32:33]
	v_fma_f64 v[14:15], v[203:204], s[8:9], v[14:15]
	v_fma_f64 v[32:33], v[251:252], s[8:9], v[253:254]
	v_add_f64_e32 v[8:9], v[18:19], v[8:9]
	v_fma_f64 v[18:19], v[4:5], s[8:9], v[16:17]
	v_fma_f64 v[16:17], v[4:5], s[8:9], -v[16:17]
	v_add_f64_e32 v[14:15], v[14:15], v[28:29]
	v_fma_f64 v[28:29], v[219:220], s[16:17], v[221:222]
	v_fma_f64 v[4:5], v[4:5], s[2:3], -v[6:7]
	v_fma_f64 v[6:7], v[12:13], s[0:1], v[20:21]
	v_add_f64_e32 v[10:11], v[18:19], v[10:11]
	v_mul_f64_e32 v[18:19], s[34:35], v[217:218]
	v_add_f64_e32 v[16:17], v[16:17], v[30:31]
	v_fma_f64 v[30:31], v[223:224], s[16:17], -v[225:226]
	s_delay_alu instid0(VALU_DEP_3) | instskip(SKIP_3) | instid1(VALU_DEP_3)
	v_fma_f64 v[64:65], v[12:13], s[16:17], -v[18:19]
	v_fma_f64 v[18:19], v[12:13], s[16:17], v[18:19]
	v_fma_f64 v[12:13], v[24:25], s[0:1], -v[26:27]
	s_add_nc_u64 s[0:1], s[12:13], 0x49f0
	v_add_f64_e32 v[8:9], v[64:65], v[8:9]
	v_fma_f64 v[64:65], v[24:25], s[16:17], v[22:23]
	v_fma_f64 v[22:23], v[24:25], s[16:17], -v[22:23]
	v_add_f64_e32 v[144:145], v[18:19], v[14:15]
	v_add_f64_e32 v[14:15], v[84:85], v[148:149]
	v_fma_f64 v[18:19], v[207:208], s[14:15], v[209:210]
	v_add_f64_e32 v[10:11], v[64:65], v[10:11]
	v_add_f64_e32 v[146:147], v[22:23], v[16:17]
	;; [unrolled: 1-line block ×4, first 2 shown]
	v_fma_f64 v[22:23], v[211:212], s[14:15], -v[213:214]
	v_add_f64_e32 v[18:19], v[18:19], v[80:81]
	s_delay_alu instid0(VALU_DEP_4) | instskip(NEXT) | instid1(VALU_DEP_4)
	v_add_f64_e32 v[16:17], v[16:17], v[158:159]
	v_add_f64_e32 v[14:15], v[14:15], v[160:161]
	s_delay_alu instid0(VALU_DEP_4) | instskip(NEXT) | instid1(VALU_DEP_4)
	v_add_f64_e32 v[22:23], v[22:23], v[82:83]
	;; [unrolled: 3-line block ×3, first 2 shown]
	v_add_f64_e32 v[14:15], v[14:15], v[164:165]
	s_delay_alu instid0(VALU_DEP_4)
	v_add_f64_e32 v[18:19], v[30:31], v[22:23]
	v_fma_f64 v[22:23], v[203:204], s[2:3], v[205:206]
	v_add_f64_e32 v[2:3], v[32:33], v[2:3]
	v_add_f64_e32 v[16:17], v[16:17], v[166:167]
	;; [unrolled: 1-line block ×4, first 2 shown]
	s_delay_alu instid0(VALU_DEP_4) | instskip(NEXT) | instid1(VALU_DEP_4)
	v_add_f64_e32 v[2:3], v[22:23], v[2:3]
	v_add_f64_e32 v[16:17], v[16:17], v[170:171]
	s_delay_alu instid0(VALU_DEP_4) | instskip(NEXT) | instid1(VALU_DEP_4)
	v_add_f64_e32 v[14:15], v[14:15], v[172:173]
	v_add_f64_e32 v[0:1], v[4:5], v[0:1]
	;; [unrolled: 3-line block ×4, first 2 shown]
	s_delay_alu instid0(VALU_DEP_3) | instskip(NEXT) | instid1(VALU_DEP_3)
	v_add_f64_e32 v[16:17], v[16:17], v[178:179]
	v_add_f64_e32 v[14:15], v[14:15], v[183:184]
	s_delay_alu instid0(VALU_DEP_2) | instskip(NEXT) | instid1(VALU_DEP_2)
	v_add_f64_e32 v[16:17], v[16:17], v[185:186]
	v_add_f64_e32 v[14:15], v[14:15], v[187:188]
	s_delay_alu instid0(VALU_DEP_2) | instskip(NEXT) | instid1(VALU_DEP_2)
	;; [unrolled: 3-line block ×3, first 2 shown]
	v_add_f64_e32 v[16:17], v[16:17], v[193:194]
	v_add_f64_e32 v[14:15], v[14:15], v[197:198]
	s_delay_alu instid0(VALU_DEP_2)
	v_add_f64_e32 v[16:17], v[16:17], v[195:196]
	ds_store_b128 v255, v[247:250] offset:2912
	ds_store_b128 v255, v[239:242] offset:4368
	;; [unrolled: 1-line block ×5, first 2 shown]
	ds_store_b128 v255, v[14:17]
	ds_store_b128 v255, v[8:11] offset:8736
	ds_store_b128 v255, v[144:147] offset:10192
	;; [unrolled: 1-line block ×7, first 2 shown]
	global_wb scope:SCOPE_SE
	s_wait_storecnt_dscnt 0x0
	s_barrier_signal -1
	s_barrier_wait -1
	global_inv scope:SCOPE_SE
	scratch_load_b64 v[0:1], off, off       ; 8-byte Folded Reload
	s_wait_loadcnt 0x0
	global_load_b128 v[0:3], v[0:1], off offset:18928
	ds_load_b128 v[4:7], v255
	ds_load_b128 v[8:11], v255 offset:2704
	s_wait_loadcnt_dscnt 0x1
	v_mul_f64_e32 v[12:13], v[6:7], v[2:3]
	v_mul_f64_e32 v[14:15], v[4:5], v[2:3]
	s_delay_alu instid0(VALU_DEP_2) | instskip(NEXT) | instid1(VALU_DEP_2)
	v_fma_f64 v[2:3], v[4:5], v[0:1], -v[12:13]
	v_fma_f64 v[4:5], v[6:7], v[0:1], v[14:15]
	s_clause 0x1
	global_load_b128 v[12:15], v182, s[0:1] offset:2704
	global_load_b128 v[16:19], v182, s[0:1] offset:5408
	s_wait_loadcnt_dscnt 0x100
	v_mul_f64_e32 v[0:1], v[10:11], v[14:15]
	v_mul_f64_e32 v[14:15], v[8:9], v[14:15]
	s_delay_alu instid0(VALU_DEP_2) | instskip(NEXT) | instid1(VALU_DEP_2)
	v_fma_f64 v[6:7], v[8:9], v[12:13], -v[0:1]
	v_fma_f64 v[8:9], v[10:11], v[12:13], v[14:15]
	ds_load_b128 v[10:13], v255 offset:5408
	ds_load_b128 v[152:155], v255 offset:8112
	s_wait_loadcnt_dscnt 0x1
	v_mul_f64_e32 v[0:1], v[12:13], v[18:19]
	v_mul_f64_e32 v[14:15], v[10:11], v[18:19]
	s_delay_alu instid0(VALU_DEP_2) | instskip(NEXT) | instid1(VALU_DEP_2)
	v_fma_f64 v[10:11], v[10:11], v[16:17], -v[0:1]
	v_fma_f64 v[12:13], v[12:13], v[16:17], v[14:15]
	s_clause 0x1
	global_load_b128 v[14:17], v182, s[0:1] offset:8112
	global_load_b128 v[156:159], v182, s[0:1] offset:10816
	s_wait_loadcnt_dscnt 0x100
	v_mul_f64_e32 v[0:1], v[154:155], v[16:17]
	v_mul_f64_e32 v[18:19], v[152:153], v[16:17]
	s_delay_alu instid0(VALU_DEP_2) | instskip(NEXT) | instid1(VALU_DEP_2)
	v_fma_f64 v[16:17], v[152:153], v[14:15], -v[0:1]
	v_fma_f64 v[18:19], v[154:155], v[14:15], v[18:19]
	ds_load_b128 v[152:155], v255 offset:10816
	ds_load_b128 v[160:163], v255 offset:13520
	s_wait_loadcnt_dscnt 0x1
	v_mul_f64_e32 v[0:1], v[154:155], v[158:159]
	v_mul_f64_e32 v[14:15], v[152:153], v[158:159]
	s_delay_alu instid0(VALU_DEP_2) | instskip(NEXT) | instid1(VALU_DEP_2)
	v_fma_f64 v[152:153], v[152:153], v[156:157], -v[0:1]
	v_fma_f64 v[154:155], v[154:155], v[156:157], v[14:15]
	s_clause 0x1
	global_load_b128 v[156:159], v182, s[0:1] offset:13520
	global_load_b128 v[164:167], v182, s[0:1] offset:16224
	ds_load_b128 v[168:171], v255 offset:16224
	s_wait_loadcnt_dscnt 0x101
	v_mul_f64_e32 v[0:1], v[162:163], v[158:159]
	v_mul_f64_e32 v[14:15], v[160:161], v[158:159]
	s_delay_alu instid0(VALU_DEP_2) | instskip(NEXT) | instid1(VALU_DEP_2)
	v_fma_f64 v[158:159], v[160:161], v[156:157], -v[0:1]
	v_fma_f64 v[160:161], v[162:163], v[156:157], v[14:15]
	s_wait_loadcnt_dscnt 0x0
	v_mul_f64_e32 v[0:1], v[170:171], v[166:167]
	v_mul_f64_e32 v[14:15], v[168:169], v[166:167]
	s_delay_alu instid0(VALU_DEP_2) | instskip(NEXT) | instid1(VALU_DEP_2)
	v_fma_f64 v[162:163], v[168:169], v[164:165], -v[0:1]
	v_fma_f64 v[164:165], v[170:171], v[164:165], v[14:15]
	ds_store_b128 v255, v[2:5]
	ds_store_b128 v255, v[6:9] offset:2704
	ds_store_b128 v255, v[10:13] offset:5408
	;; [unrolled: 1-line block ×6, first 2 shown]
	s_and_saveexec_b32 s2, vcc_lo
	s_cbranch_execz .LBB0_9
; %bb.8:
	s_wait_alu 0xfffe
	v_add_co_u32 v20, s0, s0, v182
	s_wait_alu 0xf1ff
	v_add_co_ci_u32_e64 v21, null, s1, 0, s0
	s_clause 0x6
	global_load_b128 v[0:3], v[20:21], off offset:1456
	global_load_b128 v[4:7], v[20:21], off offset:4160
	global_load_b128 v[8:11], v[20:21], off offset:6864
	global_load_b128 v[12:15], v[20:21], off offset:9568
	global_load_b128 v[16:19], v[20:21], off offset:12272
	global_load_b128 v[152:155], v[20:21], off offset:14976
	global_load_b128 v[156:159], v[20:21], off offset:17680
	ds_load_b128 v[160:163], v255 offset:1456
	ds_load_b128 v[164:167], v255 offset:4160
	;; [unrolled: 1-line block ×7, first 2 shown]
	s_wait_loadcnt_dscnt 0x606
	v_mul_f64_e32 v[20:21], v[162:163], v[2:3]
	v_mul_f64_e32 v[2:3], v[160:161], v[2:3]
	s_wait_loadcnt_dscnt 0x505
	v_mul_f64_e32 v[22:23], v[166:167], v[6:7]
	v_mul_f64_e32 v[6:7], v[164:165], v[6:7]
	;; [unrolled: 3-line block ×7, first 2 shown]
	v_fma_f64 v[158:159], v[160:161], v[0:1], -v[20:21]
	v_fma_f64 v[160:161], v[162:163], v[0:1], v[2:3]
	v_fma_f64 v[0:1], v[164:165], v[4:5], -v[22:23]
	v_fma_f64 v[2:3], v[166:167], v[4:5], v[6:7]
	;; [unrolled: 2-line block ×7, first 2 shown]
	ds_store_b128 v255, v[158:161] offset:1456
	ds_store_b128 v255, v[0:3] offset:4160
	ds_store_b128 v255, v[4:7] offset:6864
	ds_store_b128 v255, v[8:11] offset:9568
	ds_store_b128 v255, v[12:15] offset:12272
	ds_store_b128 v255, v[16:19] offset:14976
	ds_store_b128 v255, v[152:155] offset:17680
.LBB0_9:
	s_wait_alu 0xfffe
	s_or_b32 exec_lo, exec_lo, s2
	global_wb scope:SCOPE_SE
	s_wait_dscnt 0x0
	s_barrier_signal -1
	s_barrier_wait -1
	global_inv scope:SCOPE_SE
	ds_load_b128 v[152:155], v255
	ds_load_b128 v[156:159], v255 offset:2704
	ds_load_b128 v[172:175], v255 offset:5408
	;; [unrolled: 1-line block ×6, first 2 shown]
	s_and_saveexec_b32 s0, vcc_lo
	s_cbranch_execz .LBB0_11
; %bb.10:
	scratch_load_b32 v0, off, off offset:8  ; 4-byte Folded Reload
	s_wait_loadcnt 0x0
	v_lshl_add_u32 v0, v0, 4, v92
	ds_load_b128 v[144:147], v255 offset:1456
	ds_load_b128 v[140:143], v0 offset:4160
	;; [unrolled: 1-line block ×7, first 2 shown]
	s_wait_dscnt 0x0
	scratch_store_b128 off, v[0:3], off offset:12 ; 16-byte Folded Spill
.LBB0_11:
	s_wait_alu 0xfffe
	s_or_b32 exec_lo, exec_lo, s0
	s_wait_dscnt 0x0
	v_add_f64_e32 v[4:5], v[156:157], v[168:169]
	v_add_f64_e32 v[6:7], v[158:159], v[170:171]
	;; [unrolled: 1-line block ×4, first 2 shown]
	v_add_f64_e64 v[0:1], v[172:173], -v[176:177]
	v_add_f64_e64 v[2:3], v[174:175], -v[178:179]
	v_add_f64_e32 v[12:13], v[160:161], v[164:165]
	v_add_f64_e32 v[14:15], v[162:163], v[166:167]
	v_add_f64_e64 v[16:17], v[164:165], -v[160:161]
	v_add_f64_e64 v[18:19], v[166:167], -v[162:163]
	;; [unrolled: 1-line block ×4, first 2 shown]
	s_mov_b32 s2, 0x37e14327
	s_mov_b32 s12, 0xe976ee23
	;; [unrolled: 1-line block ×16, first 2 shown]
	s_wait_alu 0xfffe
	s_mov_b32 s18, s14
	s_mov_b32 s22, s20
	s_mov_b32 s24, 0x37c3f68c
	s_mov_b32 s25, 0xbfdc38aa
	global_wb scope:SCOPE_SE
	s_wait_storecnt 0x0
	s_barrier_signal -1
	s_barrier_wait -1
	global_inv scope:SCOPE_SE
	v_add_f64_e32 v[24:25], v[8:9], v[4:5]
	v_add_f64_e32 v[26:27], v[10:11], v[6:7]
	v_add_f64_e64 v[28:29], v[4:5], -v[12:13]
	v_add_f64_e64 v[30:31], v[6:7], -v[14:15]
	;; [unrolled: 1-line block ×6, first 2 shown]
	v_add_f64_e32 v[64:65], v[16:17], v[0:1]
	v_add_f64_e32 v[66:67], v[18:19], v[2:3]
	v_add_f64_e64 v[16:17], v[20:21], -v[16:17]
	v_add_f64_e64 v[18:19], v[22:23], -v[18:19]
	;; [unrolled: 1-line block ×4, first 2 shown]
	v_add_f64_e32 v[24:25], v[12:13], v[24:25]
	v_add_f64_e32 v[26:27], v[14:15], v[26:27]
	v_add_f64_e64 v[12:13], v[12:13], -v[8:9]
	v_add_f64_e64 v[14:15], v[14:15], -v[10:11]
	v_mul_f64_e32 v[28:29], s[2:3], v[28:29]
	v_mul_f64_e32 v[30:31], s[2:3], v[30:31]
	;; [unrolled: 1-line block ×6, first 2 shown]
	v_add_f64_e32 v[20:21], v[64:65], v[20:21]
	v_add_f64_e32 v[22:23], v[66:67], v[22:23]
	;; [unrolled: 1-line block ×4, first 2 shown]
	v_mul_f64_e32 v[8:9], s[16:17], v[12:13]
	v_mul_f64_e32 v[10:11], s[16:17], v[14:15]
	v_fma_f64 v[12:13], v[12:13], s[16:17], v[28:29]
	v_fma_f64 v[14:15], v[14:15], s[16:17], v[30:31]
	;; [unrolled: 1-line block ×4, first 2 shown]
	v_fma_f64 v[32:33], v[36:37], s[0:1], -v[32:33]
	v_fma_f64 v[34:35], v[38:39], s[0:1], -v[34:35]
	s_wait_alu 0xfffe
	v_fma_f64 v[16:17], v[16:17], s[22:23], -v[156:157]
	v_fma_f64 v[18:19], v[18:19], s[22:23], -v[158:159]
	;; [unrolled: 1-line block ×4, first 2 shown]
	v_fma_f64 v[24:25], v[24:25], s[8:9], v[0:1]
	v_fma_f64 v[26:27], v[26:27], s[8:9], v[2:3]
	v_fma_f64 v[4:5], v[4:5], s[14:15], -v[8:9]
	v_fma_f64 v[6:7], v[6:7], s[14:15], -v[10:11]
	v_fma_f64 v[36:37], v[20:21], s[24:25], v[64:65]
	v_fma_f64 v[38:39], v[22:23], s[24:25], v[66:67]
	v_fma_f64 v[32:33], v[20:21], s[24:25], v[32:33]
	v_fma_f64 v[34:35], v[22:23], s[24:25], v[34:35]
	v_fma_f64 v[20:21], v[20:21], s[24:25], v[16:17]
	v_fma_f64 v[22:23], v[22:23], s[24:25], v[18:19]
	v_add_f64_e32 v[64:65], v[12:13], v[24:25]
	v_add_f64_e32 v[66:67], v[14:15], v[26:27]
	;; [unrolled: 1-line block ×7, first 2 shown]
	v_add_f64_e64 v[6:7], v[66:67], -v[36:37]
	v_add_f64_e32 v[8:9], v[28:29], v[22:23]
	v_add_f64_e64 v[10:11], v[30:31], -v[20:21]
	v_add_f64_e64 v[12:13], v[16:17], -v[34:35]
	v_add_f64_e32 v[14:15], v[32:33], v[18:19]
	v_add_f64_e32 v[16:17], v[16:17], v[34:35]
	v_add_f64_e64 v[18:19], v[18:19], -v[32:33]
	v_add_f64_e64 v[152:153], v[28:29], -v[22:23]
	v_add_f64_e32 v[154:155], v[20:21], v[30:31]
	v_add_f64_e64 v[156:157], v[64:65], -v[38:39]
	v_add_f64_e32 v[158:159], v[36:37], v[66:67]
	ds_store_b128 v215, v[0:3]
	ds_store_b128 v215, v[4:7] offset:16
	ds_store_b128 v215, v[8:11] offset:32
	;; [unrolled: 1-line block ×6, first 2 shown]
	s_and_saveexec_b32 s26, vcc_lo
	s_cbranch_execz .LBB0_13
; %bb.12:
	scratch_load_b128 v[22:25], off, off offset:12 th:TH_LOAD_LU ; 16-byte Folded Reload
	v_add_f64_e32 v[4:5], v[138:139], v[150:151]
	v_add_f64_e32 v[8:9], v[136:137], v[148:149]
	v_add_f64_e64 v[2:3], v[128:129], -v[132:133]
	v_add_f64_e64 v[10:11], v[136:137], -v[148:149]
	v_add_f64_e32 v[12:13], v[134:135], v[130:131]
	v_add_f64_e32 v[14:15], v[132:133], v[128:129]
	v_add_f64_e64 v[20:21], v[130:131], -v[134:135]
	s_delay_alu instid0(VALU_DEP_4) | instskip(NEXT) | instid1(VALU_DEP_1)
	v_add_f64_e64 v[28:29], v[2:3], -v[10:11]
	v_mul_f64_e32 v[28:29], s[12:13], v[28:29]
	s_wait_loadcnt 0x0
	v_add_f64_e32 v[0:1], v[142:143], v[24:25]
	v_add_f64_e32 v[6:7], v[140:141], v[22:23]
	v_add_f64_e64 v[16:17], v[140:141], -v[22:23]
	v_add_f64_e64 v[22:23], v[138:139], -v[150:151]
	;; [unrolled: 1-line block ×3, first 2 shown]
	v_add_f64_e32 v[18:19], v[4:5], v[0:1]
	v_add_f64_e32 v[26:27], v[8:9], v[6:7]
	v_add_f64_e64 v[30:31], v[0:1], -v[12:13]
	v_add_f64_e64 v[32:33], v[6:7], -v[14:15]
	;; [unrolled: 1-line block ×6, first 2 shown]
	v_add_f64_e32 v[10:11], v[2:3], v[10:11]
	v_add_f64_e32 v[22:23], v[20:21], v[22:23]
	v_add_f64_e64 v[20:21], v[24:25], -v[20:21]
	v_add_f64_e64 v[6:7], v[8:9], -v[6:7]
	v_add_f64_e32 v[18:19], v[12:13], v[18:19]
	v_add_f64_e32 v[26:27], v[14:15], v[26:27]
	v_add_f64_e64 v[12:13], v[12:13], -v[4:5]
	v_add_f64_e64 v[14:15], v[14:15], -v[8:9]
	v_mul_f64_e32 v[30:31], s[2:3], v[30:31]
	v_mul_f64_e32 v[32:33], s[2:3], v[32:33]
	v_add_f64_e64 v[4:5], v[4:5], -v[0:1]
	v_mul_f64_e32 v[36:37], s[12:13], v[36:37]
	v_mul_f64_e32 v[130:131], s[0:1], v[38:39]
	;; [unrolled: 1-line block ×3, first 2 shown]
	v_add_f64_e32 v[10:11], v[10:11], v[16:17]
	v_add_f64_e32 v[16:17], v[22:23], v[24:25]
	v_fma_f64 v[22:23], v[64:65], s[20:21], v[28:29]
	v_fma_f64 v[28:29], v[34:35], s[0:1], -v[28:29]
	v_add_f64_e32 v[2:3], v[146:147], v[18:19]
	v_add_f64_e32 v[0:1], v[144:145], v[26:27]
	v_mul_f64_e32 v[128:129], s[16:17], v[12:13]
	v_mul_f64_e32 v[8:9], s[16:17], v[14:15]
	v_fma_f64 v[12:13], v[12:13], s[16:17], v[30:31]
	v_fma_f64 v[14:15], v[14:15], s[16:17], v[32:33]
	v_fma_f64 v[32:33], v[6:7], s[18:19], -v[32:33]
	v_fma_f64 v[34:35], v[20:21], s[20:21], v[36:37]
	v_fma_f64 v[20:21], v[20:21], s[22:23], -v[130:131]
	v_fma_f64 v[24:25], v[64:65], s[22:23], -v[66:67]
	;; [unrolled: 1-line block ×4, first 2 shown]
	v_fma_f64 v[18:19], v[18:19], s[8:9], v[2:3]
	v_fma_f64 v[26:27], v[26:27], s[8:9], v[0:1]
	v_fma_f64 v[4:5], v[4:5], s[14:15], -v[128:129]
	v_fma_f64 v[6:7], v[6:7], s[14:15], -v[8:9]
	v_fma_f64 v[8:9], v[10:11], s[24:25], v[22:23]
	v_fma_f64 v[20:21], v[16:17], s[24:25], v[20:21]
	;; [unrolled: 1-line block ×4, first 2 shown]
	v_add_f64_e32 v[12:13], v[12:13], v[18:19]
	v_add_f64_e32 v[32:33], v[32:33], v[26:27]
	;; [unrolled: 1-line block ×3, first 2 shown]
	v_fma_f64 v[30:31], v[16:17], s[24:25], v[34:35]
	v_fma_f64 v[34:35], v[16:17], s[24:25], v[36:37]
	v_add_f64_e32 v[36:37], v[14:15], v[26:27]
	v_add_f64_e32 v[26:27], v[6:7], v[26:27]
	;; [unrolled: 1-line block ×4, first 2 shown]
	v_add_f64_e64 v[130:131], v[12:13], -v[8:9]
	v_add_f64_e32 v[64:65], v[32:33], v[20:21]
	v_add_f64_e64 v[8:9], v[32:33], -v[20:21]
	scratch_load_b32 v20, off, off offset:196 th:TH_LOAD_LU ; 4-byte Folded Reload
	v_add_f64_e32 v[128:129], v[36:37], v[30:31]
	v_add_f64_e64 v[66:67], v[28:29], -v[22:23]
	v_add_f64_e32 v[18:19], v[24:25], v[4:5]
	v_add_f64_e64 v[16:17], v[26:27], -v[34:35]
	v_add_f64_e64 v[14:15], v[4:5], -v[24:25]
	v_add_f64_e32 v[12:13], v[26:27], v[34:35]
	v_add_f64_e32 v[10:11], v[22:23], v[28:29]
	v_add_f64_e64 v[4:5], v[36:37], -v[30:31]
	s_wait_loadcnt 0x0
	v_lshl_add_u32 v20, v20, 4, v92
	ds_store_b128 v20, v[0:3]
	ds_store_b128 v20, v[128:131] offset:16
	ds_store_b128 v20, v[64:67] offset:32
	;; [unrolled: 1-line block ×6, first 2 shown]
.LBB0_13:
	s_wait_alu 0xfffe
	s_or_b32 exec_lo, exec_lo, s26
	global_wb scope:SCOPE_SE
	s_wait_dscnt 0x0
	s_barrier_signal -1
	s_barrier_wait -1
	global_inv scope:SCOPE_SE
	ds_load_b128 v[64:67], v255 offset:1456
	ds_load_b128 v[16:19], v255
	scratch_load_b128 v[2:5], off, off offset:180 th:TH_LOAD_LU ; 16-byte Folded Reload
	s_mov_b32 s42, 0x4267c47c
	s_mov_b32 s26, 0x42a4c3d2
	;; [unrolled: 1-line block ×25, first 2 shown]
	s_wait_alu 0xfffe
	s_mov_b32 s28, s20
	s_mov_b32 s39, 0x3fddbe06
	;; [unrolled: 1-line block ×11, first 2 shown]
	s_wait_loadcnt_dscnt 0x1
	v_mul_f64_e32 v[0:1], v[4:5], v[66:67]
	s_delay_alu instid0(VALU_DEP_1) | instskip(SKIP_1) | instid1(VALU_DEP_1)
	v_fma_f64 v[12:13], v[2:3], v[64:65], v[0:1]
	v_mul_f64_e32 v[0:1], v[4:5], v[64:65]
	v_fma_f64 v[14:15], v[2:3], v[66:67], -v[0:1]
	ds_load_b128 v[0:3], v255 offset:2912
	ds_load_b128 v[4:7], v255 offset:4368
	scratch_load_b128 v[20:23], off, off offset:164 th:TH_LOAD_LU ; 16-byte Folded Reload
	s_wait_loadcnt_dscnt 0x1
	v_mul_f64_e32 v[8:9], v[22:23], v[0:1]
	s_delay_alu instid0(VALU_DEP_1) | instskip(SKIP_1) | instid1(VALU_DEP_1)
	v_fma_f64 v[64:65], v[20:21], v[2:3], -v[8:9]
	v_mul_f64_e32 v[2:3], v[22:23], v[2:3]
	v_fma_f64 v[66:67], v[20:21], v[0:1], v[2:3]
	ds_load_b128 v[0:3], v255 offset:17472
	s_wait_dscnt 0x0
	v_mul_f64_e32 v[8:9], v[78:79], v[0:1]
	s_delay_alu instid0(VALU_DEP_1) | instskip(SKIP_1) | instid1(VALU_DEP_1)
	v_fma_f64 v[32:33], v[76:77], v[2:3], -v[8:9]
	v_mul_f64_e32 v[2:3], v[78:79], v[2:3]
	v_fma_f64 v[34:35], v[76:77], v[0:1], v[2:3]
	ds_load_b128 v[0:3], v255 offset:16016
	ds_load_b128 v[8:11], v255 offset:14560
	s_wait_dscnt 0x1
	v_mul_f64_e32 v[20:21], v[74:75], v[0:1]
	v_add_f64_e64 v[136:137], v[12:13], -v[34:35]
	s_delay_alu instid0(VALU_DEP_2) | instskip(SKIP_2) | instid1(VALU_DEP_1)
	v_fma_f64 v[36:37], v[72:73], v[2:3], -v[20:21]
	scratch_load_b128 v[20:23], off, off offset:148 th:TH_LOAD_LU ; 16-byte Folded Reload
	v_mul_f64_e32 v[2:3], v[74:75], v[2:3]
	v_fma_f64 v[38:39], v[72:73], v[0:1], v[2:3]
	s_wait_loadcnt 0x0
	v_mul_f64_e32 v[0:1], v[22:23], v[4:5]
	s_delay_alu instid0(VALU_DEP_1) | instskip(SKIP_1) | instid1(VALU_DEP_1)
	v_fma_f64 v[72:73], v[20:21], v[6:7], -v[0:1]
	v_mul_f64_e32 v[0:1], v[22:23], v[6:7]
	v_fma_f64 v[74:75], v[20:21], v[4:5], v[0:1]
	s_wait_dscnt 0x0
	v_mul_f64_e32 v[0:1], v[70:71], v[8:9]
	v_add_f64_e32 v[20:21], v[12:13], v[34:35]
	s_delay_alu instid0(VALU_DEP_2) | instskip(SKIP_1) | instid1(VALU_DEP_1)
	v_fma_f64 v[28:29], v[68:69], v[10:11], -v[0:1]
	v_mul_f64_e32 v[0:1], v[70:71], v[10:11]
	v_fma_f64 v[30:31], v[68:69], v[8:9], v[0:1]
	ds_load_b128 v[0:3], v255 offset:5824
	ds_load_b128 v[4:7], v255 offset:7280
	s_wait_dscnt 0x1
	v_mul_f64_e32 v[8:9], v[42:43], v[0:1]
	s_delay_alu instid0(VALU_DEP_1) | instskip(SKIP_1) | instid1(VALU_DEP_1)
	v_fma_f64 v[68:69], v[40:41], v[2:3], -v[8:9]
	v_mul_f64_e32 v[2:3], v[42:43], v[2:3]
	v_fma_f64 v[40:41], v[40:41], v[0:1], v[2:3]
	s_wait_dscnt 0x0
	v_mul_f64_e32 v[0:1], v[54:55], v[6:7]
	s_delay_alu instid0(VALU_DEP_1) | instskip(SKIP_1) | instid1(VALU_DEP_1)
	v_fma_f64 v[42:43], v[52:53], v[4:5], v[0:1]
	v_mul_f64_e32 v[0:1], v[54:55], v[4:5]
	v_fma_f64 v[52:53], v[52:53], v[6:7], -v[0:1]
	ds_load_b128 v[0:3], v255 offset:8736
	ds_load_b128 v[4:7], v255 offset:10192
	s_wait_dscnt 0x1
	v_mul_f64_e32 v[8:9], v[46:47], v[2:3]
	s_delay_alu instid0(VALU_DEP_1) | instskip(SKIP_1) | instid1(VALU_DEP_1)
	v_fma_f64 v[54:55], v[44:45], v[0:1], v[8:9]
	v_mul_f64_e32 v[0:1], v[46:47], v[0:1]
	v_fma_f64 v[44:45], v[44:45], v[2:3], -v[0:1]
	s_wait_dscnt 0x0
	v_mul_f64_e32 v[0:1], v[58:59], v[6:7]
	s_delay_alu instid0(VALU_DEP_1) | instskip(SKIP_1) | instid1(VALU_DEP_2)
	v_fma_f64 v[46:47], v[56:57], v[4:5], v[0:1]
	v_mul_f64_e32 v[0:1], v[58:59], v[4:5]
	v_add_f64_e32 v[198:199], v[54:55], v[46:47]
	s_delay_alu instid0(VALU_DEP_2)
	v_fma_f64 v[56:57], v[56:57], v[6:7], -v[0:1]
	ds_load_b128 v[0:3], v255 offset:11648
	ds_load_b128 v[4:7], v255 offset:13104
	v_add_f64_e64 v[204:205], v[54:55], -v[46:47]
	s_wait_dscnt 0x1
	v_mul_f64_e32 v[8:9], v[50:51], v[2:3]
	v_add_f64_e64 v[196:197], v[44:45], -v[56:57]
	v_add_f64_e32 v[202:203], v[44:45], v[56:57]
	s_delay_alu instid0(VALU_DEP_3) | instskip(SKIP_1) | instid1(VALU_DEP_4)
	v_fma_f64 v[58:59], v[48:49], v[0:1], v[8:9]
	v_mul_f64_e32 v[0:1], v[50:51], v[0:1]
	v_mul_f64_e32 v[200:201], s[22:23], v[196:197]
	s_delay_alu instid0(VALU_DEP_4)
	v_mul_f64_e32 v[206:207], s[0:1], v[202:203]
	s_wait_alu 0xfffe
	v_mul_f64_e32 v[225:226], s[38:39], v[196:197]
	v_mul_f64_e32 v[227:228], s[16:17], v[202:203]
	;; [unrolled: 1-line block ×5, first 2 shown]
	v_add_f64_e32 v[186:187], v[42:43], v[58:59]
	v_fma_f64 v[48:49], v[48:49], v[2:3], -v[0:1]
	s_wait_dscnt 0x0
	v_mul_f64_e32 v[0:1], v[62:63], v[4:5]
	v_add_f64_e64 v[192:193], v[42:43], -v[58:59]
	v_fma_f64 v[110:111], v[204:205], s[28:29], v[108:109]
	s_delay_alu instid0(VALU_DEP_4) | instskip(NEXT) | instid1(VALU_DEP_4)
	v_add_f64_e32 v[190:191], v[52:53], v[48:49]
	v_fma_f64 v[50:51], v[60:61], v[6:7], -v[0:1]
	v_mul_f64_e32 v[0:1], v[62:63], v[6:7]
	s_delay_alu instid0(VALU_DEP_3) | instskip(SKIP_1) | instid1(VALU_DEP_3)
	v_mul_f64_e32 v[194:195], s[2:3], v[190:191]
	v_mul_f64_e32 v[223:224], s[14:15], v[190:191]
	v_fma_f64 v[60:61], v[60:61], v[4:5], v[0:1]
	v_add_f64_e64 v[0:1], v[14:15], -v[32:33]
	v_mul_f64_e32 v[243:244], s[12:13], v[190:191]
	v_mul_f64_e32 v[88:89], s[0:1], v[190:191]
	;; [unrolled: 1-line block ×4, first 2 shown]
	v_add_f64_e32 v[166:167], v[40:41], v[60:61]
	v_mul_f64_e32 v[2:3], s[42:43], v[0:1]
	v_mul_f64_e32 v[4:5], s[26:27], v[0:1]
	;; [unrolled: 1-line block ×6, first 2 shown]
	v_fma_f64 v[90:91], v[192:193], s[22:23], v[88:89]
	v_fma_f64 v[106:107], v[192:193], s[42:43], v[104:105]
	;; [unrolled: 1-line block ×3, first 2 shown]
	v_fma_f64 v[24:25], v[20:21], s[16:17], -v[2:3]
	v_fma_f64 v[26:27], v[20:21], s[12:13], v[4:5]
	v_fma_f64 v[4:5], v[20:21], s[12:13], -v[4:5]
	v_fma_f64 v[128:129], v[20:21], s[14:15], v[6:7]
	;; [unrolled: 2-line block ×5, first 2 shown]
	v_fma_f64 v[20:21], v[20:21], s[0:1], -v[0:1]
	v_add_f64_e32 v[0:1], v[14:15], v[32:33]
	v_add_f64_e32 v[176:177], v[16:17], v[128:129]
	;; [unrolled: 1-line block ×5, first 2 shown]
	v_add_f64_e64 v[132:133], v[66:67], -v[38:39]
	v_mul_f64_e32 v[62:63], s[12:13], v[0:1]
	v_mul_f64_e32 v[76:77], s[8:9], v[0:1]
	;; [unrolled: 1-line block ×6, first 2 shown]
	v_fma_f64 v[144:145], v[136:137], s[26:27], v[62:63]
	v_fma_f64 v[152:153], v[136:137], s[20:21], v[76:77]
	;; [unrolled: 1-line block ×9, first 2 shown]
	v_add_f64_e32 v[78:79], v[16:17], v[4:5]
	v_fma_f64 v[148:149], v[136:137], s[40:41], v[70:71]
	v_fma_f64 v[160:161], v[136:137], s[18:19], v[0:1]
	;; [unrolled: 1-line block ×3, first 2 shown]
	v_add_f64_e32 v[0:1], v[16:17], v[12:13]
	v_add_f64_e32 v[2:3], v[18:19], v[14:15]
	;; [unrolled: 1-line block ×5, first 2 shown]
	v_add_f64_e64 v[26:27], v[40:41], -v[60:61]
	v_add_f64_e32 v[76:77], v[18:19], v[144:145]
	v_add_f64_e32 v[144:145], v[18:19], v[152:153]
	v_add_f64_e64 v[152:153], v[64:65], -v[36:37]
	v_add_f64_e32 v[4:5], v[18:19], v[156:157]
	v_add_f64_e64 v[156:157], v[72:73], -v[28:29]
	v_add_f64_e32 v[62:63], v[18:19], v[138:139]
	v_add_f64_e32 v[24:25], v[18:19], v[140:141]
	;; [unrolled: 1-line block ×16, first 2 shown]
	v_add_f64_e64 v[160:161], v[74:75], -v[30:31]
	scratch_store_b64 off, v[0:1], off offset:12 ; 8-byte Folded Spill
	v_add_f64_e32 v[2:3], v[2:3], v[64:65]
	v_mul_f64_e32 v[130:131], s[26:27], v[152:153]
	v_mul_f64_e32 v[208:209], s[20:21], v[152:153]
	;; [unrolled: 1-line block ×14, first 2 shown]
	v_add_f64_e32 v[2:3], v[2:3], v[72:73]
	v_fma_f64 v[16:17], v[128:129], s[12:13], -v[130:131]
	v_fma_f64 v[20:21], v[138:139], s[14:15], -v[142:143]
	v_fma_f64 v[18:19], v[132:133], s[26:27], v[134:135]
	v_fma_f64 v[94:95], v[132:133], s[40:41], v[92:93]
	v_add_f64_e32 v[2:3], v[2:3], v[68:69]
	v_add_f64_e32 v[16:17], v[16:17], v[22:23]
	s_delay_alu instid0(VALU_DEP_4) | instskip(NEXT) | instid1(VALU_DEP_4)
	v_add_f64_e32 v[18:19], v[18:19], v[24:25]
	v_add_f64_e32 v[94:95], v[94:95], v[164:165]
	v_mul_f64_e32 v[164:165], s[26:27], v[156:157]
	v_mul_f64_e32 v[156:157], s[34:35], v[156:157]
	v_add_f64_e32 v[2:3], v[2:3], v[52:53]
	v_add_f64_e32 v[16:17], v[20:21], v[16:17]
	;; [unrolled: 1-line block ×3, first 2 shown]
	s_delay_alu instid0(VALU_DEP_3) | instskip(NEXT) | instid1(VALU_DEP_2)
	v_add_f64_e32 v[2:3], v[2:3], v[44:45]
	v_mul_f64_e32 v[162:163], s[14:15], v[20:21]
	v_mul_f64_e32 v[214:215], s[0:1], v[20:21]
	;; [unrolled: 1-line block ×6, first 2 shown]
	v_add_f64_e32 v[2:3], v[2:3], v[56:57]
	v_fma_f64 v[22:23], v[160:161], s[40:41], v[162:163]
	s_delay_alu instid0(VALU_DEP_4) | instskip(NEXT) | instid1(VALU_DEP_3)
	v_fma_f64 v[98:99], v[160:161], s[36:37], v[96:97]
	v_add_f64_e32 v[2:3], v[2:3], v[48:49]
	s_delay_alu instid0(VALU_DEP_3) | instskip(SKIP_1) | instid1(VALU_DEP_4)
	v_add_f64_e32 v[18:19], v[22:23], v[18:19]
	v_add_f64_e64 v[22:23], v[68:69], -v[50:51]
	v_add_f64_e32 v[94:95], v[98:99], v[94:95]
	s_delay_alu instid0(VALU_DEP_4) | instskip(NEXT) | instid1(VALU_DEP_3)
	v_add_f64_e32 v[2:3], v[2:3], v[50:51]
	v_mul_f64_e32 v[168:169], s[20:21], v[22:23]
	v_mul_f64_e32 v[217:218], s[24:25], v[22:23]
	v_mul_f64_e32 v[237:238], s[38:39], v[22:23]
	v_mul_f64_e32 v[158:159], s[40:41], v[22:23]
	v_mul_f64_e32 v[98:99], s[18:19], v[22:23]
	v_mul_f64_e32 v[22:23], s[36:37], v[22:23]
	v_add_f64_e32 v[2:3], v[2:3], v[28:29]
	v_fma_f64 v[24:25], v[166:167], s[8:9], -v[168:169]
	s_delay_alu instid0(VALU_DEP_2) | instskip(NEXT) | instid1(VALU_DEP_2)
	v_add_f64_e32 v[2:3], v[2:3], v[36:37]
	v_add_f64_e32 v[16:17], v[24:25], v[16:17]
	;; [unrolled: 1-line block ×3, first 2 shown]
	s_delay_alu instid0(VALU_DEP_3) | instskip(NEXT) | instid1(VALU_DEP_2)
	v_add_f64_e32 v[2:3], v[2:3], v[32:33]
	v_mul_f64_e32 v[178:179], s[8:9], v[24:25]
	v_mul_f64_e32 v[219:220], s[2:3], v[24:25]
	;; [unrolled: 1-line block ×6, first 2 shown]
	v_fma_f64 v[180:181], v[26:27], s[20:21], v[178:179]
	s_delay_alu instid0(VALU_DEP_4) | instskip(NEXT) | instid1(VALU_DEP_4)
	v_fma_f64 v[82:83], v[26:27], s[30:31], v[80:81]
	v_fma_f64 v[102:103], v[26:27], s[22:23], v[100:101]
	s_delay_alu instid0(VALU_DEP_3) | instskip(SKIP_1) | instid1(VALU_DEP_3)
	v_add_f64_e32 v[18:19], v[180:181], v[18:19]
	v_add_f64_e64 v[180:181], v[52:53], -v[48:49]
	v_add_f64_e32 v[94:95], v[102:103], v[94:95]
	s_delay_alu instid0(VALU_DEP_2)
	v_mul_f64_e32 v[188:189], s[34:35], v[180:181]
	v_mul_f64_e32 v[221:222], s[30:31], v[180:181]
	;; [unrolled: 1-line block ×5, first 2 shown]
	v_add_f64_e32 v[94:95], v[106:107], v[94:95]
	v_mul_f64_e32 v[106:107], s[20:21], v[196:197]
	v_mul_f64_e32 v[180:181], s[20:21], v[180:181]
	v_fma_f64 v[182:183], v[186:187], s[2:3], -v[188:189]
	v_fma_f64 v[86:87], v[186:187], s[0:1], v[84:85]
	s_delay_alu instid0(VALU_DEP_2) | instskip(SKIP_1) | instid1(VALU_DEP_1)
	v_add_f64_e32 v[16:17], v[182:183], v[16:17]
	v_fma_f64 v[182:183], v[192:193], s[34:35], v[194:195]
	v_add_f64_e32 v[18:19], v[182:183], v[18:19]
	v_fma_f64 v[182:183], v[198:199], s[0:1], -v[200:201]
	s_delay_alu instid0(VALU_DEP_1) | instskip(SKIP_1) | instid1(VALU_DEP_1)
	v_add_f64_e32 v[16:17], v[182:183], v[16:17]
	v_fma_f64 v[182:183], v[204:205], s[22:23], v[206:207]
	v_add_f64_e32 v[18:19], v[182:183], v[18:19]
	v_fma_f64 v[182:183], v[128:129], s[8:9], v[208:209]
	s_delay_alu instid0(VALU_DEP_1) | instskip(SKIP_1) | instid1(VALU_DEP_1)
	v_add_f64_e32 v[14:15], v[182:183], v[14:15]
	v_fma_f64 v[182:183], v[132:133], s[28:29], v[210:211]
	v_add_f64_e32 v[12:13], v[182:183], v[12:13]
	v_fma_f64 v[182:183], v[138:139], s[0:1], v[212:213]
	;; [unrolled: 5-line block ×12, first 2 shown]
	s_delay_alu instid0(VALU_DEP_1) | instskip(SKIP_2) | instid1(VALU_DEP_2)
	v_add_f64_e32 v[172:173], v[182:183], v[172:173]
	v_fma_f64 v[182:183], v[160:161], s[42:43], v[0:1]
	v_fma_f64 v[0:1], v[160:161], s[38:39], v[0:1]
	v_add_f64_e32 v[170:171], v[182:183], v[170:171]
	v_fma_f64 v[182:183], v[166:167], s[14:15], v[158:159]
	s_delay_alu instid0(VALU_DEP_2) | instskip(NEXT) | instid1(VALU_DEP_2)
	v_add_f64_e32 v[82:83], v[82:83], v[170:171]
	v_add_f64_e32 v[172:173], v[182:183], v[172:173]
	s_delay_alu instid0(VALU_DEP_2) | instskip(SKIP_1) | instid1(VALU_DEP_3)
	v_add_f64_e32 v[82:83], v[90:91], v[82:83]
	v_mul_f64_e32 v[90:91], s[36:37], v[196:197]
	v_add_f64_e32 v[86:87], v[86:87], v[172:173]
	v_mul_f64_e32 v[196:197], s[30:31], v[196:197]
	s_delay_alu instid0(VALU_DEP_3) | instskip(NEXT) | instid1(VALU_DEP_1)
	v_fma_f64 v[170:171], v[198:199], s[12:13], v[90:91]
	v_add_f64_e32 v[170:171], v[170:171], v[86:87]
	v_mul_f64_e32 v[86:87], s[12:13], v[202:203]
	v_mul_f64_e32 v[202:203], s[14:15], v[202:203]
	s_delay_alu instid0(VALU_DEP_2) | instskip(NEXT) | instid1(VALU_DEP_1)
	v_fma_f64 v[172:173], v[204:205], s[26:27], v[86:87]
	v_add_f64_e32 v[172:173], v[172:173], v[82:83]
	v_mul_f64_e32 v[82:83], s[30:31], v[152:153]
	s_delay_alu instid0(VALU_DEP_1) | instskip(NEXT) | instid1(VALU_DEP_1)
	v_fma_f64 v[182:183], v[128:129], s[14:15], v[82:83]
	v_add_f64_e32 v[182:183], v[182:183], v[184:185]
	v_fma_f64 v[184:185], v[138:139], s[12:13], v[164:165]
	s_delay_alu instid0(VALU_DEP_1) | instskip(SKIP_1) | instid1(VALU_DEP_1)
	v_add_f64_e32 v[182:183], v[184:185], v[182:183]
	v_fma_f64 v[184:185], v[166:167], s[0:1], v[98:99]
	v_add_f64_e32 v[182:183], v[184:185], v[182:183]
	v_fma_f64 v[184:185], v[186:187], s[16:17], v[102:103]
	s_delay_alu instid0(VALU_DEP_1) | instskip(SKIP_1) | instid1(VALU_DEP_1)
	v_add_f64_e32 v[182:183], v[184:185], v[182:183]
	v_fma_f64 v[184:185], v[198:199], s[8:9], v[106:107]
	v_add_f64_e32 v[182:183], v[184:185], v[182:183]
	v_add_f64_e32 v[184:185], v[110:111], v[94:95]
	v_mul_f64_e32 v[94:95], s[38:39], v[152:153]
	s_delay_alu instid0(VALU_DEP_1) | instskip(NEXT) | instid1(VALU_DEP_1)
	v_fma_f64 v[110:111], v[128:129], s[16:17], v[94:95]
	v_add_f64_e32 v[110:111], v[110:111], v[150:151]
	v_fma_f64 v[150:151], v[132:133], s[42:43], v[154:155]
	s_delay_alu instid0(VALU_DEP_1) | instskip(SKIP_1) | instid1(VALU_DEP_1)
	v_add_f64_e32 v[10:11], v[150:151], v[10:11]
	v_fma_f64 v[150:151], v[138:139], s[2:3], v[156:157]
	v_add_f64_e32 v[110:111], v[150:151], v[110:111]
	v_fma_f64 v[150:151], v[160:161], s[24:25], v[20:21]
	v_fma_f64 v[20:21], v[160:161], s[34:35], v[20:21]
	s_delay_alu instid0(VALU_DEP_2) | instskip(SKIP_1) | instid1(VALU_DEP_1)
	v_add_f64_e32 v[10:11], v[150:151], v[10:11]
	v_fma_f64 v[150:151], v[166:167], s[12:13], v[22:23]
	v_add_f64_e32 v[110:111], v[150:151], v[110:111]
	v_fma_f64 v[150:151], v[26:27], s[26:27], v[24:25]
	s_delay_alu instid0(VALU_DEP_1) | instskip(SKIP_1) | instid1(VALU_DEP_1)
	v_add_f64_e32 v[10:11], v[150:151], v[10:11]
	v_fma_f64 v[150:151], v[186:187], s[8:9], v[180:181]
	v_add_f64_e32 v[110:111], v[150:151], v[110:111]
	v_fma_f64 v[150:151], v[192:193], s[28:29], v[190:191]
	s_delay_alu instid0(VALU_DEP_1) | instskip(SKIP_1) | instid1(VALU_DEP_1)
	v_add_f64_e32 v[10:11], v[150:151], v[10:11]
	v_fma_f64 v[150:151], v[198:199], s[14:15], v[196:197]
	v_add_f64_e32 v[150:151], v[150:151], v[110:111]
	v_fma_f64 v[110:111], v[204:205], s[40:41], v[202:203]
	s_delay_alu instid0(VALU_DEP_1) | instskip(SKIP_2) | instid1(VALU_DEP_2)
	v_add_f64_e32 v[152:153], v[110:111], v[10:11]
	v_fma_f64 v[10:11], v[128:129], s[16:17], -v[94:95]
	v_fma_f64 v[94:95], v[138:139], s[2:3], -v[156:157]
	v_add_f64_e32 v[8:9], v[10:11], v[8:9]
	v_fma_f64 v[10:11], v[132:133], s[38:39], v[154:155]
	s_delay_alu instid0(VALU_DEP_2) | instskip(NEXT) | instid1(VALU_DEP_2)
	v_add_f64_e32 v[8:9], v[94:95], v[8:9]
	v_add_f64_e32 v[10:11], v[10:11], v[148:149]
	s_delay_alu instid0(VALU_DEP_1) | instskip(SKIP_2) | instid1(VALU_DEP_2)
	v_add_f64_e32 v[10:11], v[20:21], v[10:11]
	v_fma_f64 v[20:21], v[166:167], s[12:13], -v[22:23]
	v_fma_f64 v[22:23], v[204:205], s[30:31], v[202:203]
	v_add_f64_e32 v[8:9], v[20:21], v[8:9]
	v_fma_f64 v[20:21], v[26:27], s[36:37], v[24:25]
	v_fma_f64 v[24:25], v[138:139], s[16:17], -v[253:254]
	s_delay_alu instid0(VALU_DEP_2) | instskip(SKIP_1) | instid1(VALU_DEP_1)
	v_add_f64_e32 v[10:11], v[20:21], v[10:11]
	v_fma_f64 v[20:21], v[186:187], s[8:9], -v[180:181]
	v_add_f64_e32 v[8:9], v[20:21], v[8:9]
	v_fma_f64 v[20:21], v[192:193], s[20:21], v[190:191]
	s_delay_alu instid0(VALU_DEP_1) | instskip(SKIP_1) | instid1(VALU_DEP_2)
	v_add_f64_e32 v[10:11], v[20:21], v[10:11]
	v_fma_f64 v[20:21], v[198:199], s[14:15], -v[196:197]
	v_add_f64_e32 v[10:11], v[22:23], v[10:11]
	s_delay_alu instid0(VALU_DEP_2) | instskip(SKIP_2) | instid1(VALU_DEP_2)
	v_add_f64_e32 v[8:9], v[20:21], v[8:9]
	v_fma_f64 v[20:21], v[128:129], s[14:15], -v[82:83]
	v_fma_f64 v[22:23], v[204:205], s[20:21], v[108:109]
	v_add_f64_e32 v[6:7], v[20:21], v[6:7]
	v_fma_f64 v[20:21], v[132:133], s[30:31], v[92:93]
	s_delay_alu instid0(VALU_DEP_1) | instskip(SKIP_1) | instid1(VALU_DEP_1)
	v_add_f64_e32 v[4:5], v[20:21], v[4:5]
	v_fma_f64 v[20:21], v[138:139], s[12:13], -v[164:165]
	v_add_f64_e32 v[6:7], v[20:21], v[6:7]
	v_fma_f64 v[20:21], v[160:161], s[26:27], v[96:97]
	s_delay_alu instid0(VALU_DEP_1) | instskip(SKIP_1) | instid1(VALU_DEP_1)
	v_add_f64_e32 v[4:5], v[20:21], v[4:5]
	v_fma_f64 v[20:21], v[166:167], s[0:1], -v[98:99]
	;; [unrolled: 5-line block ×4, first 2 shown]
	v_add_f64_e32 v[4:5], v[4:5], v[6:7]
	s_delay_alu instid0(VALU_DEP_3) | instskip(SKIP_2) | instid1(VALU_DEP_2)
	v_add_f64_e32 v[6:7], v[22:23], v[20:21]
	v_fma_f64 v[20:21], v[128:129], s[2:3], -v[249:250]
	v_fma_f64 v[22:23], v[132:133], s[24:25], v[251:252]
	v_add_f64_e32 v[20:21], v[20:21], v[146:147]
	s_delay_alu instid0(VALU_DEP_2) | instskip(NEXT) | instid1(VALU_DEP_2)
	v_add_f64_e32 v[22:23], v[22:23], v[144:145]
	v_add_f64_e32 v[20:21], v[24:25], v[20:21]
	s_delay_alu instid0(VALU_DEP_2) | instskip(SKIP_2) | instid1(VALU_DEP_2)
	v_add_f64_e32 v[0:1], v[0:1], v[22:23]
	v_fma_f64 v[22:23], v[166:167], s[14:15], -v[158:159]
	v_fma_f64 v[24:25], v[204:205], s[36:37], v[86:87]
	v_add_f64_e32 v[20:21], v[22:23], v[20:21]
	v_fma_f64 v[22:23], v[26:27], s[40:41], v[80:81]
	s_delay_alu instid0(VALU_DEP_1) | instskip(SKIP_1) | instid1(VALU_DEP_1)
	v_add_f64_e32 v[0:1], v[22:23], v[0:1]
	v_fma_f64 v[22:23], v[186:187], s[0:1], -v[84:85]
	v_add_f64_e32 v[20:21], v[22:23], v[20:21]
	v_fma_f64 v[22:23], v[192:193], s[18:19], v[88:89]
	s_delay_alu instid0(VALU_DEP_1) | instskip(SKIP_1) | instid1(VALU_DEP_2)
	v_add_f64_e32 v[0:1], v[22:23], v[0:1]
	v_fma_f64 v[22:23], v[198:199], s[12:13], -v[90:91]
	v_add_f64_e32 v[146:147], v[24:25], v[0:1]
	v_fma_f64 v[0:1], v[128:129], s[0:1], -v[229:230]
	s_delay_alu instid0(VALU_DEP_3) | instskip(SKIP_4) | instid1(VALU_DEP_4)
	v_add_f64_e32 v[144:145], v[22:23], v[20:21]
	v_fma_f64 v[20:21], v[132:133], s[22:23], v[231:232]
	v_fma_f64 v[22:23], v[138:139], s[8:9], -v[233:234]
	v_fma_f64 v[24:25], v[204:205], s[34:35], v[247:248]
	v_add_f64_e32 v[0:1], v[0:1], v[140:141]
	v_add_f64_e32 v[20:21], v[20:21], v[136:137]
	s_delay_alu instid0(VALU_DEP_2) | instskip(SKIP_1) | instid1(VALU_DEP_1)
	v_add_f64_e32 v[0:1], v[22:23], v[0:1]
	v_fma_f64 v[22:23], v[160:161], s[28:29], v[235:236]
	v_add_f64_e32 v[20:21], v[22:23], v[20:21]
	v_fma_f64 v[22:23], v[166:167], s[16:17], -v[237:238]
	s_delay_alu instid0(VALU_DEP_1) | instskip(SKIP_1) | instid1(VALU_DEP_1)
	v_add_f64_e32 v[0:1], v[22:23], v[0:1]
	v_fma_f64 v[22:23], v[26:27], s[38:39], v[239:240]
	v_add_f64_e32 v[20:21], v[22:23], v[20:21]
	v_fma_f64 v[22:23], v[186:187], s[12:13], -v[241:242]
	s_delay_alu instid0(VALU_DEP_1) | instskip(SKIP_1) | instid1(VALU_DEP_1)
	v_add_f64_e32 v[0:1], v[22:23], v[0:1]
	v_fma_f64 v[22:23], v[192:193], s[26:27], v[243:244]
	v_add_f64_e32 v[20:21], v[22:23], v[20:21]
	v_fma_f64 v[22:23], v[198:199], s[2:3], -v[245:246]
	s_delay_alu instid0(VALU_DEP_2) | instskip(NEXT) | instid1(VALU_DEP_2)
	v_add_f64_e32 v[156:157], v[24:25], v[20:21]
	v_add_f64_e32 v[154:155], v[22:23], v[0:1]
	v_fma_f64 v[0:1], v[128:129], s[8:9], -v[208:209]
	v_fma_f64 v[20:21], v[132:133], s[20:21], v[210:211]
	v_fma_f64 v[22:23], v[138:139], s[0:1], -v[212:213]
	v_fma_f64 v[24:25], v[204:205], s[38:39], v[227:228]
	s_delay_alu instid0(VALU_DEP_4) | instskip(NEXT) | instid1(VALU_DEP_4)
	v_add_f64_e32 v[0:1], v[0:1], v[78:79]
	v_add_f64_e32 v[20:21], v[20:21], v[76:77]
	s_delay_alu instid0(VALU_DEP_2) | instskip(SKIP_1) | instid1(VALU_DEP_1)
	v_add_f64_e32 v[0:1], v[22:23], v[0:1]
	v_fma_f64 v[22:23], v[160:161], s[22:23], v[214:215]
	v_add_f64_e32 v[20:21], v[22:23], v[20:21]
	v_fma_f64 v[22:23], v[166:167], s[2:3], -v[217:218]
	s_delay_alu instid0(VALU_DEP_1) | instskip(SKIP_1) | instid1(VALU_DEP_1)
	v_add_f64_e32 v[0:1], v[22:23], v[0:1]
	v_fma_f64 v[22:23], v[26:27], s[24:25], v[219:220]
	v_add_f64_e32 v[20:21], v[22:23], v[20:21]
	v_fma_f64 v[22:23], v[186:187], s[14:15], -v[221:222]
	s_delay_alu instid0(VALU_DEP_1) | instskip(SKIP_1) | instid1(VALU_DEP_1)
	v_add_f64_e32 v[0:1], v[22:23], v[0:1]
	v_fma_f64 v[22:23], v[192:193], s[30:31], v[223:224]
	v_add_f64_e32 v[20:21], v[22:23], v[20:21]
	v_fma_f64 v[22:23], v[198:199], s[16:17], -v[225:226]
	s_delay_alu instid0(VALU_DEP_2) | instskip(NEXT) | instid1(VALU_DEP_2)
	v_add_f64_e32 v[78:79], v[24:25], v[20:21]
	v_add_f64_e32 v[76:77], v[22:23], v[0:1]
	v_fma_f64 v[0:1], v[128:129], s[12:13], v[130:131]
	v_fma_f64 v[20:21], v[132:133], s[36:37], v[134:135]
	;; [unrolled: 1-line block ×4, first 2 shown]
	s_delay_alu instid0(VALU_DEP_4) | instskip(NEXT) | instid1(VALU_DEP_4)
	v_add_f64_e32 v[0:1], v[0:1], v[70:71]
	v_add_f64_e32 v[20:21], v[20:21], v[62:63]
	v_fma_f64 v[62:63], v[166:167], s[8:9], v[168:169]
	s_delay_alu instid0(VALU_DEP_3) | instskip(SKIP_1) | instid1(VALU_DEP_4)
	v_add_f64_e32 v[0:1], v[22:23], v[0:1]
	v_fma_f64 v[22:23], v[26:27], s[28:29], v[178:179]
	v_add_f64_e32 v[20:21], v[24:25], v[20:21]
	v_fma_f64 v[24:25], v[186:187], s[2:3], v[188:189]
	v_fma_f64 v[26:27], v[192:193], s[24:25], v[194:195]
	v_add_f64_e32 v[0:1], v[62:63], v[0:1]
	s_delay_alu instid0(VALU_DEP_4) | instskip(SKIP_1) | instid1(VALU_DEP_3)
	v_add_f64_e32 v[20:21], v[22:23], v[20:21]
	v_fma_f64 v[22:23], v[198:199], s[0:1], v[200:201]
	v_add_f64_e32 v[0:1], v[24:25], v[0:1]
	v_fma_f64 v[24:25], v[204:205], s[18:19], v[206:207]
	s_delay_alu instid0(VALU_DEP_4) | instskip(NEXT) | instid1(VALU_DEP_3)
	v_add_f64_e32 v[20:21], v[26:27], v[20:21]
	v_add_f64_e32 v[128:129], v[22:23], v[0:1]
	scratch_load_b64 v[0:1], off, off offset:12 th:TH_LOAD_LU ; 8-byte Folded Reload
	v_add_f64_e32 v[130:131], v[24:25], v[20:21]
	global_wb scope:SCOPE_SE
	s_wait_loadcnt 0x0
	s_wait_storecnt 0x0
	s_barrier_signal -1
	s_barrier_wait -1
	global_inv scope:SCOPE_SE
	v_add_f64_e32 v[0:1], v[0:1], v[66:67]
	s_delay_alu instid0(VALU_DEP_1) | instskip(NEXT) | instid1(VALU_DEP_1)
	v_add_f64_e32 v[0:1], v[0:1], v[74:75]
	v_add_f64_e32 v[0:1], v[0:1], v[40:41]
	s_delay_alu instid0(VALU_DEP_1) | instskip(NEXT) | instid1(VALU_DEP_1)
	v_add_f64_e32 v[0:1], v[0:1], v[42:43]
	;; [unrolled: 3-line block ×5, first 2 shown]
	v_add_f64_e32 v[0:1], v[0:1], v[34:35]
	ds_store_b128 v216, v[12:15] offset:224
	ds_store_b128 v216, v[174:177] offset:336
	;; [unrolled: 1-line block ×12, first 2 shown]
	ds_store_b128 v216, v[0:3]
	global_wb scope:SCOPE_SE
	s_wait_dscnt 0x0
	s_barrier_signal -1
	s_barrier_wait -1
	global_inv scope:SCOPE_SE
	ds_load_b128 v[28:31], v255 offset:1456
	ds_load_b128 v[16:19], v255
	scratch_load_b128 v[2:5], off, off offset:216 th:TH_LOAD_LU ; 16-byte Folded Reload
	s_wait_loadcnt_dscnt 0x1
	v_mul_f64_e32 v[0:1], v[4:5], v[30:31]
	s_delay_alu instid0(VALU_DEP_1) | instskip(SKIP_1) | instid1(VALU_DEP_1)
	v_fma_f64 v[20:21], v[2:3], v[28:29], v[0:1]
	v_mul_f64_e32 v[0:1], v[4:5], v[28:29]
	v_fma_f64 v[22:23], v[2:3], v[30:31], -v[0:1]
	ds_load_b128 v[0:3], v255 offset:2912
	ds_load_b128 v[4:7], v255 offset:4368
	scratch_load_b128 v[10:13], off, off offset:200 th:TH_LOAD_LU ; 16-byte Folded Reload
	s_wait_loadcnt_dscnt 0x1
	v_mul_f64_e32 v[8:9], v[12:13], v[0:1]
	s_delay_alu instid0(VALU_DEP_1) | instskip(SKIP_1) | instid1(VALU_DEP_1)
	v_fma_f64 v[34:35], v[10:11], v[2:3], -v[8:9]
	v_mul_f64_e32 v[2:3], v[12:13], v[2:3]
	v_fma_f64 v[38:39], v[10:11], v[0:1], v[2:3]
	ds_load_b128 v[0:3], v255 offset:17472
	s_wait_dscnt 0x0
	v_mul_f64_e32 v[8:9], v[126:127], v[0:1]
	s_delay_alu instid0(VALU_DEP_1) | instskip(SKIP_2) | instid1(VALU_DEP_1)
	v_fma_f64 v[28:29], v[124:125], v[2:3], -v[8:9]
	scratch_load_b128 v[8:11], off, off offset:312 th:TH_LOAD_LU ; 16-byte Folded Reload
	v_mul_f64_e32 v[2:3], v[126:127], v[2:3]
	v_fma_f64 v[30:31], v[124:125], v[0:1], v[2:3]
	s_delay_alu instid0(VALU_DEP_1) | instskip(SKIP_3) | instid1(VALU_DEP_2)
	v_add_f64_e64 v[88:89], v[20:21], -v[30:31]
	s_wait_loadcnt 0x0
	v_mul_f64_e32 v[0:1], v[10:11], v[4:5]
	v_mul_f64_e32 v[2:3], v[10:11], v[6:7]
	v_fma_f64 v[0:1], v[8:9], v[6:7], -v[0:1]
	s_delay_alu instid0(VALU_DEP_2) | instskip(SKIP_4) | instid1(VALU_DEP_1)
	v_fma_f64 v[2:3], v[8:9], v[4:5], v[2:3]
	ds_load_b128 v[4:7], v255 offset:16016
	ds_load_b128 v[8:11], v255 offset:14560
	s_wait_dscnt 0x1
	v_mul_f64_e32 v[12:13], v[122:123], v[4:5]
	v_fma_f64 v[32:33], v[120:121], v[6:7], -v[12:13]
	v_mul_f64_e32 v[6:7], v[122:123], v[6:7]
	s_delay_alu instid0(VALU_DEP_1) | instskip(SKIP_2) | instid1(VALU_DEP_1)
	v_fma_f64 v[36:37], v[120:121], v[4:5], v[6:7]
	s_wait_dscnt 0x0
	v_mul_f64_e32 v[4:5], v[118:119], v[8:9]
	v_fma_f64 v[40:41], v[116:117], v[10:11], -v[4:5]
	v_mul_f64_e32 v[4:5], v[118:119], v[10:11]
	s_delay_alu instid0(VALU_DEP_1)
	v_fma_f64 v[42:43], v[116:117], v[8:9], v[4:5]
	ds_load_b128 v[4:7], v255 offset:5824
	ds_load_b128 v[8:11], v255 offset:7280
	scratch_load_b128 v[24:27], off, off offset:248 th:TH_LOAD_LU ; 16-byte Folded Reload
	v_add_f64_e64 v[126:127], v[2:3], -v[42:43]
	s_wait_loadcnt_dscnt 0x1
	v_mul_f64_e32 v[12:13], v[26:27], v[6:7]
	s_delay_alu instid0(VALU_DEP_1) | instskip(SKIP_1) | instid1(VALU_DEP_1)
	v_fma_f64 v[48:49], v[24:25], v[4:5], v[12:13]
	v_mul_f64_e32 v[4:5], v[26:27], v[4:5]
	v_fma_f64 v[50:51], v[24:25], v[6:7], -v[4:5]
	ds_load_b128 v[4:7], v255 offset:13104
	ds_load_b128 v[12:15], v255 offset:11648
	s_wait_dscnt 0x1
	v_mul_f64_e32 v[24:25], v[114:115], v[6:7]
	s_delay_alu instid0(VALU_DEP_1) | instskip(SKIP_4) | instid1(VALU_DEP_3)
	v_fma_f64 v[44:45], v[112:113], v[4:5], v[24:25]
	scratch_load_b128 v[24:27], off, off offset:280 th:TH_LOAD_LU ; 16-byte Folded Reload
	v_mul_f64_e32 v[4:5], v[114:115], v[4:5]
	v_add_f64_e32 v[132:133], v[48:49], v[44:45]
	v_add_f64_e64 v[138:139], v[48:49], -v[44:45]
	v_fma_f64 v[46:47], v[112:113], v[6:7], -v[4:5]
	s_delay_alu instid0(VALU_DEP_1) | instskip(SKIP_1) | instid1(VALU_DEP_2)
	v_add_f64_e64 v[130:131], v[50:51], -v[46:47]
	v_add_f64_e32 v[136:137], v[50:51], v[46:47]
	v_mul_f64_e32 v[134:135], s[20:21], v[130:131]
	s_delay_alu instid0(VALU_DEP_2)
	v_mul_f64_e32 v[140:141], s[8:9], v[136:137]
	v_mul_f64_e32 v[174:175], s[24:25], v[130:131]
	;; [unrolled: 1-line block ×7, first 2 shown]
	s_wait_loadcnt 0x0
	v_mul_f64_e32 v[4:5], v[26:27], v[10:11]
	s_delay_alu instid0(VALU_DEP_1) | instskip(SKIP_1) | instid1(VALU_DEP_1)
	v_fma_f64 v[52:53], v[24:25], v[8:9], v[4:5]
	v_mul_f64_e32 v[4:5], v[26:27], v[8:9]
	v_fma_f64 v[54:55], v[24:25], v[10:11], -v[4:5]
	ds_load_b128 v[4:7], v255 offset:8736
	ds_load_b128 v[8:11], v255 offset:10192
	scratch_load_b128 v[58:61], off, off offset:232 th:TH_LOAD_LU ; 16-byte Folded Reload
	s_wait_loadcnt_dscnt 0x1
	v_mul_f64_e32 v[24:25], v[60:61], v[6:7]
	s_delay_alu instid0(VALU_DEP_1) | instskip(SKIP_2) | instid1(VALU_DEP_1)
	v_fma_f64 v[56:57], v[58:59], v[4:5], v[24:25]
	scratch_load_b128 v[24:27], off, off offset:296 th:TH_LOAD_LU ; 16-byte Folded Reload
	v_mul_f64_e32 v[4:5], v[60:61], v[4:5]
	v_fma_f64 v[58:59], v[58:59], v[6:7], -v[4:5]
	s_wait_loadcnt_dscnt 0x0
	v_mul_f64_e32 v[4:5], v[26:27], v[10:11]
	s_delay_alu instid0(VALU_DEP_1)
	v_fma_f64 v[60:61], v[24:25], v[8:9], v[4:5]
	v_mul_f64_e32 v[4:5], v[26:27], v[8:9]
	scratch_load_b128 v[6:9], off, off offset:264 th:TH_LOAD_LU ; 16-byte Folded Reload
	v_add_f64_e32 v[156:157], v[56:57], v[60:61]
	v_fma_f64 v[62:63], v[24:25], v[10:11], -v[4:5]
	v_add_f64_e32 v[24:25], v[20:21], v[30:31]
	v_add_f64_e64 v[162:163], v[56:57], -v[60:61]
	s_delay_alu instid0(VALU_DEP_3) | instskip(SKIP_1) | instid1(VALU_DEP_2)
	v_add_f64_e64 v[154:155], v[58:59], -v[62:63]
	v_add_f64_e32 v[160:161], v[58:59], v[62:63]
	v_mul_f64_e32 v[158:159], s[22:23], v[154:155]
	s_delay_alu instid0(VALU_DEP_2)
	v_mul_f64_e32 v[164:165], s[0:1], v[160:161]
	v_mul_f64_e32 v[182:183], s[38:39], v[154:155]
	v_mul_f64_e32 v[200:201], s[34:35], v[154:155]
	v_mul_f64_e32 v[202:203], s[2:3], v[160:161]
	v_mul_f64_e32 v[216:217], s[36:37], v[154:155]
	v_mul_f64_e32 v[218:219], s[12:13], v[160:161]
	s_wait_loadcnt 0x0
	v_mul_f64_e32 v[4:5], v[8:9], v[14:15]
	s_delay_alu instid0(VALU_DEP_1) | instskip(SKIP_1) | instid1(VALU_DEP_2)
	v_fma_f64 v[64:65], v[6:7], v[12:13], v[4:5]
	v_mul_f64_e32 v[4:5], v[8:9], v[12:13]
	v_add_f64_e32 v[144:145], v[52:53], v[64:65]
	s_delay_alu instid0(VALU_DEP_2) | instskip(SKIP_2) | instid1(VALU_DEP_3)
	v_fma_f64 v[66:67], v[6:7], v[14:15], -v[4:5]
	v_add_f64_e64 v[4:5], v[22:23], -v[28:29]
	v_add_f64_e64 v[150:151], v[52:53], -v[64:65]
	;; [unrolled: 1-line block ×3, first 2 shown]
	s_delay_alu instid0(VALU_DEP_3)
	v_mul_f64_e32 v[6:7], s[42:43], v[4:5]
	v_mul_f64_e32 v[8:9], s[26:27], v[4:5]
	;; [unrolled: 1-line block ×6, first 2 shown]
	v_add_f64_e32 v[148:149], v[54:55], v[66:67]
	v_mul_f64_e32 v[146:147], s[34:35], v[142:143]
	v_fma_f64 v[26:27], v[24:25], s[16:17], v[6:7]
	v_fma_f64 v[72:73], v[24:25], s[16:17], -v[6:7]
	v_fma_f64 v[74:75], v[24:25], s[12:13], v[8:9]
	v_fma_f64 v[8:9], v[24:25], s[12:13], -v[8:9]
	;; [unrolled: 2-line block ×6, first 2 shown]
	v_add_f64_e32 v[4:5], v[22:23], v[28:29]
	v_mul_f64_e32 v[152:153], s[2:3], v[148:149]
	v_mul_f64_e32 v[178:179], s[30:31], v[142:143]
	;; [unrolled: 1-line block ×7, first 2 shown]
	v_add_f64_e32 v[114:115], v[16:17], v[76:77]
	v_add_f64_e32 v[78:79], v[16:17], v[78:79]
	;; [unrolled: 1-line block ×3, first 2 shown]
	v_add_f64_e64 v[80:81], v[38:39], -v[36:37]
	v_add_f64_e32 v[122:123], v[16:17], v[82:83]
	v_mul_f64_e32 v[68:69], s[14:15], v[4:5]
	v_mul_f64_e32 v[6:7], s[16:17], v[4:5]
	;; [unrolled: 1-line block ×6, first 2 shown]
	v_fma_f64 v[100:101], v[88:89], s[40:41], v[68:69]
	v_fma_f64 v[90:91], v[88:89], s[38:39], v[6:7]
	;; [unrolled: 1-line block ×4, first 2 shown]
	v_add_f64_e32 v[68:69], v[16:17], v[20:21]
	v_fma_f64 v[108:109], v[88:89], s[18:19], v[4:5]
	v_fma_f64 v[110:111], v[88:89], s[22:23], v[4:5]
	v_add_f64_e32 v[4:5], v[16:17], v[26:27]
	v_add_f64_e32 v[20:21], v[16:17], v[72:73]
	;; [unrolled: 1-line block ×4, first 2 shown]
	v_fma_f64 v[92:93], v[88:89], s[42:43], v[6:7]
	v_fma_f64 v[96:97], v[88:89], s[26:27], v[10:11]
	v_add_f64_e32 v[10:11], v[16:17], v[8:9]
	v_fma_f64 v[102:103], v[88:89], s[28:29], v[70:71]
	v_fma_f64 v[104:105], v[88:89], s[20:21], v[70:71]
	v_fma_f64 v[106:107], v[88:89], s[24:25], v[86:87]
	v_fma_f64 v[86:87], v[88:89], s[34:35], v[86:87]
	v_add_f64_e32 v[70:71], v[18:19], v[22:23]
	v_add_f64_e32 v[76:77], v[18:19], v[100:101]
	v_add_f64_e64 v[100:101], v[34:35], -v[32:33]
	v_add_f64_e32 v[6:7], v[18:19], v[90:91]
	v_add_f64_e32 v[112:113], v[18:19], v[94:95]
	;; [unrolled: 1-line block ×16, first 2 shown]
	v_mul_f64_e32 v[74:75], s[26:27], v[100:101]
	v_mul_f64_e32 v[166:167], s[20:21], v[100:101]
	;; [unrolled: 1-line block ×6, first 2 shown]
	v_fma_f64 v[16:17], v[72:73], s[12:13], -v[74:75]
	s_delay_alu instid0(VALU_DEP_1) | instskip(SKIP_1) | instid1(VALU_DEP_1)
	v_add_f64_e32 v[16:17], v[16:17], v[20:21]
	v_add_f64_e32 v[20:21], v[34:35], v[32:33]
	v_mul_f64_e32 v[82:83], s[12:13], v[20:21]
	v_mul_f64_e32 v[168:169], s[8:9], v[20:21]
	;; [unrolled: 1-line block ×3, first 2 shown]
	s_delay_alu instid0(VALU_DEP_3) | instskip(NEXT) | instid1(VALU_DEP_2)
	v_fma_f64 v[18:19], v[80:81], s[26:27], v[82:83]
	v_fma_f64 v[108:109], v[80:81], s[18:19], v[186:187]
	s_delay_alu instid0(VALU_DEP_2) | instskip(SKIP_1) | instid1(VALU_DEP_3)
	v_add_f64_e32 v[18:19], v[18:19], v[22:23]
	v_add_f64_e64 v[22:23], v[0:1], -v[40:41]
	v_add_f64_e32 v[108:109], v[108:109], v[116:117]
	s_delay_alu instid0(VALU_DEP_2) | instskip(SKIP_2) | instid1(VALU_DEP_3)
	v_mul_f64_e32 v[86:87], s[40:41], v[22:23]
	v_mul_f64_e32 v[170:171], s[22:23], v[22:23]
	;; [unrolled: 1-line block ×3, first 2 shown]
	v_fma_f64 v[24:25], v[84:85], s[14:15], -v[86:87]
	s_delay_alu instid0(VALU_DEP_3) | instskip(NEXT) | instid1(VALU_DEP_3)
	v_fma_f64 v[104:105], v[84:85], s[0:1], v[170:171]
	v_fma_f64 v[110:111], v[84:85], s[8:9], v[188:189]
	s_delay_alu instid0(VALU_DEP_3) | instskip(SKIP_1) | instid1(VALU_DEP_1)
	v_add_f64_e32 v[16:17], v[24:25], v[16:17]
	v_add_f64_e32 v[24:25], v[0:1], v[40:41]
	v_mul_f64_e32 v[128:129], s[14:15], v[24:25]
	v_mul_f64_e32 v[172:173], s[0:1], v[24:25]
	;; [unrolled: 1-line block ×4, first 2 shown]
	s_delay_alu instid0(VALU_DEP_4) | instskip(NEXT) | instid1(VALU_DEP_1)
	v_fma_f64 v[102:103], v[126:127], s[40:41], v[128:129]
	v_add_f64_e32 v[18:19], v[102:103], v[18:19]
	v_fma_f64 v[102:103], v[132:133], s[8:9], -v[134:135]
	s_delay_alu instid0(VALU_DEP_1) | instskip(SKIP_1) | instid1(VALU_DEP_1)
	v_add_f64_e32 v[16:17], v[102:103], v[16:17]
	v_fma_f64 v[102:103], v[138:139], s[20:21], v[140:141]
	v_add_f64_e32 v[18:19], v[102:103], v[18:19]
	v_fma_f64 v[102:103], v[144:145], s[2:3], -v[146:147]
	s_delay_alu instid0(VALU_DEP_1) | instskip(SKIP_1) | instid1(VALU_DEP_1)
	v_add_f64_e32 v[16:17], v[102:103], v[16:17]
	;; [unrolled: 5-line block ×3, first 2 shown]
	v_fma_f64 v[102:103], v[162:163], s[22:23], v[164:165]
	v_add_f64_e32 v[18:19], v[102:103], v[18:19]
	v_fma_f64 v[102:103], v[72:73], s[8:9], v[166:167]
	s_delay_alu instid0(VALU_DEP_1) | instskip(SKIP_1) | instid1(VALU_DEP_2)
	v_add_f64_e32 v[26:27], v[102:103], v[26:27]
	v_fma_f64 v[102:103], v[80:81], s[28:29], v[168:169]
	v_add_f64_e32 v[26:27], v[104:105], v[26:27]
	s_delay_alu instid0(VALU_DEP_2) | instskip(SKIP_1) | instid1(VALU_DEP_1)
	v_add_f64_e32 v[102:103], v[102:103], v[112:113]
	v_fma_f64 v[104:105], v[126:127], s[18:19], v[172:173]
	v_add_f64_e32 v[102:103], v[104:105], v[102:103]
	v_fma_f64 v[104:105], v[132:133], s[2:3], v[174:175]
	s_delay_alu instid0(VALU_DEP_1) | instskip(SKIP_1) | instid1(VALU_DEP_1)
	v_add_f64_e32 v[26:27], v[104:105], v[26:27]
	v_fma_f64 v[104:105], v[138:139], s[34:35], v[176:177]
	v_add_f64_e32 v[102:103], v[104:105], v[102:103]
	v_fma_f64 v[104:105], v[144:145], s[14:15], v[178:179]
	s_delay_alu instid0(VALU_DEP_1) | instskip(SKIP_1) | instid1(VALU_DEP_1)
	;; [unrolled: 5-line block ×3, first 2 shown]
	v_add_f64_e32 v[102:103], v[102:103], v[26:27]
	v_mul_f64_e32 v[26:27], s[16:17], v[160:161]
	v_fma_f64 v[106:107], v[162:163], s[42:43], v[26:27]
	s_delay_alu instid0(VALU_DEP_1) | instskip(SKIP_1) | instid1(VALU_DEP_1)
	v_add_f64_e32 v[104:105], v[106:107], v[104:105]
	v_fma_f64 v[106:107], v[72:73], s[0:1], v[184:185]
	v_add_f64_e32 v[106:107], v[106:107], v[114:115]
	s_delay_alu instid0(VALU_DEP_1) | instskip(SKIP_1) | instid1(VALU_DEP_1)
	v_add_f64_e32 v[106:107], v[110:111], v[106:107]
	v_fma_f64 v[110:111], v[126:127], s[20:21], v[190:191]
	v_add_f64_e32 v[108:109], v[110:111], v[108:109]
	v_fma_f64 v[110:111], v[132:133], s[16:17], v[192:193]
	s_delay_alu instid0(VALU_DEP_1) | instskip(SKIP_1) | instid1(VALU_DEP_1)
	v_add_f64_e32 v[106:107], v[110:111], v[106:107]
	v_fma_f64 v[110:111], v[138:139], s[42:43], v[194:195]
	v_add_f64_e32 v[108:109], v[110:111], v[108:109]
	v_fma_f64 v[110:111], v[144:145], s[12:13], v[196:197]
	;; [unrolled: 5-line block ×4, first 2 shown]
	s_delay_alu instid0(VALU_DEP_1) | instskip(SKIP_1) | instid1(VALU_DEP_1)
	v_add_f64_e32 v[110:111], v[110:111], v[118:119]
	v_mul_f64_e32 v[118:119], s[2:3], v[20:21]
	v_fma_f64 v[112:113], v[80:81], s[34:35], v[118:119]
	s_delay_alu instid0(VALU_DEP_1) | instskip(SKIP_1) | instid1(VALU_DEP_1)
	v_add_f64_e32 v[112:113], v[112:113], v[120:121]
	v_mul_f64_e32 v[120:121], s[38:39], v[22:23]
	v_fma_f64 v[114:115], v[84:85], s[16:17], v[120:121]
	s_delay_alu instid0(VALU_DEP_1) | instskip(SKIP_1) | instid1(VALU_DEP_1)
	v_add_f64_e32 v[110:111], v[114:115], v[110:111]
	v_fma_f64 v[114:115], v[126:127], s[42:43], v[206:207]
	v_add_f64_e32 v[112:113], v[114:115], v[112:113]
	v_fma_f64 v[114:115], v[132:133], s[14:15], v[208:209]
	s_delay_alu instid0(VALU_DEP_1) | instskip(SKIP_1) | instid1(VALU_DEP_1)
	v_add_f64_e32 v[110:111], v[114:115], v[110:111]
	v_fma_f64 v[114:115], v[138:139], s[30:31], v[210:211]
	v_add_f64_e32 v[112:113], v[114:115], v[112:113]
	;; [unrolled: 5-line block ×4, first 2 shown]
	v_fma_f64 v[114:115], v[72:73], s[14:15], v[220:221]
	s_delay_alu instid0(VALU_DEP_1) | instskip(SKIP_2) | instid1(VALU_DEP_2)
	v_add_f64_e32 v[114:115], v[114:115], v[122:123]
	v_mul_f64_e32 v[122:123], s[14:15], v[20:21]
	v_mul_f64_e32 v[20:21], s[16:17], v[20:21]
	v_fma_f64 v[116:117], v[80:81], s[40:41], v[122:123]
	s_delay_alu instid0(VALU_DEP_1) | instskip(SKIP_2) | instid1(VALU_DEP_2)
	v_add_f64_e32 v[116:117], v[116:117], v[124:125]
	v_mul_f64_e32 v[124:125], s[26:27], v[22:23]
	v_mul_f64_e32 v[22:23], s[34:35], v[22:23]
	;; [unrolled: 5-line block ×9, first 2 shown]
	v_fma_f64 v[236:237], v[162:163], s[28:29], v[234:235]
	s_delay_alu instid0(VALU_DEP_1) | instskip(SKIP_2) | instid1(VALU_DEP_2)
	v_add_f64_e32 v[116:117], v[236:237], v[116:117]
	v_fma_f64 v[236:237], v[72:73], s[16:17], v[100:101]
	v_fma_f64 v[100:101], v[72:73], s[16:17], -v[100:101]
	v_add_f64_e32 v[14:15], v[236:237], v[14:15]
	v_fma_f64 v[236:237], v[80:81], s[42:43], v[20:21]
	v_fma_f64 v[20:21], v[80:81], s[38:39], v[20:21]
	s_delay_alu instid0(VALU_DEP_4) | instskip(NEXT) | instid1(VALU_DEP_3)
	v_add_f64_e32 v[98:99], v[100:101], v[98:99]
	v_add_f64_e32 v[12:13], v[236:237], v[12:13]
	v_fma_f64 v[236:237], v[84:85], s[2:3], v[22:23]
	s_delay_alu instid0(VALU_DEP_4) | instskip(SKIP_1) | instid1(VALU_DEP_3)
	v_add_f64_e32 v[20:21], v[20:21], v[96:97]
	v_fma_f64 v[22:23], v[84:85], s[2:3], -v[22:23]
	v_add_f64_e32 v[14:15], v[236:237], v[14:15]
	v_fma_f64 v[236:237], v[126:127], s[24:25], v[24:25]
	v_fma_f64 v[24:25], v[126:127], s[34:35], v[24:25]
	s_delay_alu instid0(VALU_DEP_4) | instskip(SKIP_1) | instid1(VALU_DEP_4)
	v_add_f64_e32 v[22:23], v[22:23], v[98:99]
	v_fma_f64 v[98:99], v[162:163], s[30:31], v[160:161]
	v_add_f64_e32 v[12:13], v[236:237], v[12:13]
	s_delay_alu instid0(VALU_DEP_4) | instskip(SKIP_2) | instid1(VALU_DEP_2)
	v_add_f64_e32 v[20:21], v[24:25], v[20:21]
	v_fma_f64 v[24:25], v[132:133], s[12:13], -v[130:131]
	v_fma_f64 v[236:237], v[132:133], s[12:13], v[130:131]
	v_add_f64_e32 v[22:23], v[24:25], v[22:23]
	v_fma_f64 v[24:25], v[138:139], s[36:37], v[136:137]
	s_delay_alu instid0(VALU_DEP_3) | instskip(SKIP_1) | instid1(VALU_DEP_3)
	v_add_f64_e32 v[14:15], v[236:237], v[14:15]
	v_fma_f64 v[236:237], v[138:139], s[26:27], v[136:137]
	v_add_f64_e32 v[20:21], v[24:25], v[20:21]
	v_fma_f64 v[24:25], v[144:145], s[8:9], -v[142:143]
	s_delay_alu instid0(VALU_DEP_3) | instskip(SKIP_1) | instid1(VALU_DEP_3)
	v_add_f64_e32 v[12:13], v[236:237], v[12:13]
	v_fma_f64 v[236:237], v[144:145], s[8:9], v[142:143]
	v_add_f64_e32 v[22:23], v[24:25], v[22:23]
	v_fma_f64 v[24:25], v[150:151], s[20:21], v[148:149]
	s_delay_alu instid0(VALU_DEP_3) | instskip(SKIP_1) | instid1(VALU_DEP_3)
	v_add_f64_e32 v[14:15], v[236:237], v[14:15]
	v_fma_f64 v[236:237], v[150:151], s[28:29], v[148:149]
	v_add_f64_e32 v[20:21], v[24:25], v[20:21]
	v_fma_f64 v[24:25], v[156:157], s[14:15], -v[154:155]
	s_delay_alu instid0(VALU_DEP_3) | instskip(SKIP_1) | instid1(VALU_DEP_4)
	v_add_f64_e32 v[236:237], v[236:237], v[12:13]
	v_fma_f64 v[12:13], v[156:157], s[14:15], v[154:155]
	v_add_f64_e32 v[98:99], v[98:99], v[20:21]
	v_fma_f64 v[20:21], v[72:73], s[14:15], -v[220:221]
	v_add_f64_e32 v[96:97], v[24:25], v[22:23]
	v_fma_f64 v[22:23], v[80:81], s[30:31], v[122:123]
	v_fma_f64 v[24:25], v[84:85], s[12:13], -v[124:125]
	v_add_f64_e32 v[12:13], v[12:13], v[14:15]
	v_fma_f64 v[14:15], v[162:163], s[40:41], v[160:161]
	v_add_f64_e32 v[20:21], v[20:21], v[94:95]
	v_fma_f64 v[94:95], v[162:163], s[20:21], v[234:235]
	v_add_f64_e32 v[22:23], v[22:23], v[92:93]
	s_delay_alu instid0(VALU_DEP_4) | instskip(NEXT) | instid1(VALU_DEP_4)
	v_add_f64_e32 v[14:15], v[14:15], v[236:237]
	v_add_f64_e32 v[20:21], v[24:25], v[20:21]
	v_fma_f64 v[24:25], v[126:127], s[26:27], v[222:223]
	s_delay_alu instid0(VALU_DEP_1) | instskip(SKIP_1) | instid1(VALU_DEP_1)
	v_add_f64_e32 v[22:23], v[24:25], v[22:23]
	v_fma_f64 v[24:25], v[132:133], s[0:1], -v[224:225]
	v_add_f64_e32 v[20:21], v[24:25], v[20:21]
	v_fma_f64 v[24:25], v[138:139], s[18:19], v[226:227]
	s_delay_alu instid0(VALU_DEP_1) | instskip(SKIP_1) | instid1(VALU_DEP_1)
	v_add_f64_e32 v[22:23], v[24:25], v[22:23]
	v_fma_f64 v[24:25], v[144:145], s[16:17], -v[228:229]
	v_add_f64_e32 v[20:21], v[24:25], v[20:21]
	v_fma_f64 v[24:25], v[150:151], s[38:39], v[230:231]
	s_delay_alu instid0(VALU_DEP_1) | instskip(SKIP_1) | instid1(VALU_DEP_2)
	v_add_f64_e32 v[22:23], v[24:25], v[22:23]
	v_fma_f64 v[24:25], v[156:157], s[8:9], -v[232:233]
	v_add_f64_e32 v[94:95], v[94:95], v[22:23]
	s_delay_alu instid0(VALU_DEP_2) | instskip(SKIP_3) | instid1(VALU_DEP_3)
	v_add_f64_e32 v[92:93], v[24:25], v[20:21]
	v_fma_f64 v[20:21], v[72:73], s[2:3], -v[204:205]
	v_fma_f64 v[22:23], v[80:81], s[24:25], v[118:119]
	v_fma_f64 v[24:25], v[84:85], s[16:17], -v[120:121]
	v_add_f64_e32 v[20:21], v[20:21], v[90:91]
	s_delay_alu instid0(VALU_DEP_3) | instskip(SKIP_1) | instid1(VALU_DEP_3)
	v_add_f64_e32 v[22:23], v[22:23], v[88:89]
	v_fma_f64 v[90:91], v[162:163], s[36:37], v[218:219]
	v_add_f64_e32 v[20:21], v[24:25], v[20:21]
	v_fma_f64 v[24:25], v[126:127], s[38:39], v[206:207]
	s_delay_alu instid0(VALU_DEP_1) | instskip(SKIP_1) | instid1(VALU_DEP_1)
	v_add_f64_e32 v[22:23], v[24:25], v[22:23]
	v_fma_f64 v[24:25], v[132:133], s[14:15], -v[208:209]
	v_add_f64_e32 v[20:21], v[24:25], v[20:21]
	v_fma_f64 v[24:25], v[138:139], s[40:41], v[210:211]
	s_delay_alu instid0(VALU_DEP_1) | instskip(SKIP_1) | instid1(VALU_DEP_1)
	v_add_f64_e32 v[22:23], v[24:25], v[22:23]
	v_fma_f64 v[24:25], v[144:145], s[0:1], -v[212:213]
	v_add_f64_e32 v[20:21], v[24:25], v[20:21]
	v_fma_f64 v[24:25], v[150:151], s[18:19], v[214:215]
	s_delay_alu instid0(VALU_DEP_1) | instskip(SKIP_1) | instid1(VALU_DEP_2)
	v_add_f64_e32 v[22:23], v[24:25], v[22:23]
	v_fma_f64 v[24:25], v[156:157], s[12:13], -v[216:217]
	v_add_f64_e32 v[90:91], v[90:91], v[22:23]
	s_delay_alu instid0(VALU_DEP_2) | instskip(SKIP_3) | instid1(VALU_DEP_3)
	v_add_f64_e32 v[88:89], v[24:25], v[20:21]
	v_fma_f64 v[20:21], v[72:73], s[0:1], -v[184:185]
	v_fma_f64 v[22:23], v[80:81], s[22:23], v[186:187]
	v_fma_f64 v[24:25], v[84:85], s[8:9], -v[188:189]
	v_add_f64_e32 v[20:21], v[20:21], v[78:79]
	s_delay_alu instid0(VALU_DEP_3) | instskip(SKIP_1) | instid1(VALU_DEP_3)
	v_add_f64_e32 v[22:23], v[22:23], v[76:77]
	v_fma_f64 v[78:79], v[162:163], s[34:35], v[202:203]
	v_add_f64_e32 v[20:21], v[24:25], v[20:21]
	v_fma_f64 v[24:25], v[126:127], s[28:29], v[190:191]
	s_delay_alu instid0(VALU_DEP_1) | instskip(SKIP_1) | instid1(VALU_DEP_1)
	v_add_f64_e32 v[22:23], v[24:25], v[22:23]
	v_fma_f64 v[24:25], v[132:133], s[16:17], -v[192:193]
	v_add_f64_e32 v[20:21], v[24:25], v[20:21]
	v_fma_f64 v[24:25], v[138:139], s[38:39], v[194:195]
	s_delay_alu instid0(VALU_DEP_1) | instskip(SKIP_1) | instid1(VALU_DEP_1)
	v_add_f64_e32 v[22:23], v[24:25], v[22:23]
	v_fma_f64 v[24:25], v[144:145], s[12:13], -v[196:197]
	v_add_f64_e32 v[20:21], v[24:25], v[20:21]
	v_fma_f64 v[24:25], v[150:151], s[26:27], v[198:199]
	s_delay_alu instid0(VALU_DEP_1) | instskip(SKIP_1) | instid1(VALU_DEP_2)
	v_add_f64_e32 v[22:23], v[24:25], v[22:23]
	v_fma_f64 v[24:25], v[156:157], s[2:3], -v[200:201]
	v_add_f64_e32 v[78:79], v[78:79], v[22:23]
	s_delay_alu instid0(VALU_DEP_2) | instskip(SKIP_4) | instid1(VALU_DEP_4)
	v_add_f64_e32 v[76:77], v[24:25], v[20:21]
	v_fma_f64 v[20:21], v[72:73], s[8:9], -v[166:167]
	v_fma_f64 v[22:23], v[162:163], s[38:39], v[26:27]
	v_fma_f64 v[24:25], v[84:85], s[14:15], v[86:87]
	;; [unrolled: 1-line block ×3, first 2 shown]
	v_add_f64_e32 v[10:11], v[20:21], v[10:11]
	v_fma_f64 v[20:21], v[80:81], s[20:21], v[168:169]
	s_delay_alu instid0(VALU_DEP_1) | instskip(SKIP_1) | instid1(VALU_DEP_1)
	v_add_f64_e32 v[8:9], v[20:21], v[8:9]
	v_fma_f64 v[20:21], v[84:85], s[0:1], -v[170:171]
	v_add_f64_e32 v[10:11], v[20:21], v[10:11]
	v_fma_f64 v[20:21], v[126:127], s[22:23], v[172:173]
	s_delay_alu instid0(VALU_DEP_1) | instskip(SKIP_1) | instid1(VALU_DEP_1)
	v_add_f64_e32 v[8:9], v[20:21], v[8:9]
	v_fma_f64 v[20:21], v[132:133], s[2:3], -v[174:175]
	;; [unrolled: 5-line block ×4, first 2 shown]
	v_add_f64_e32 v[8:9], v[8:9], v[10:11]
	s_delay_alu instid0(VALU_DEP_3) | instskip(SKIP_2) | instid1(VALU_DEP_2)
	v_add_f64_e32 v[10:11], v[22:23], v[20:21]
	v_fma_f64 v[20:21], v[72:73], s[12:13], v[74:75]
	v_fma_f64 v[22:23], v[80:81], s[36:37], v[82:83]
	v_add_f64_e32 v[4:5], v[20:21], v[4:5]
	s_delay_alu instid0(VALU_DEP_2) | instskip(SKIP_2) | instid1(VALU_DEP_4)
	v_add_f64_e32 v[6:7], v[22:23], v[6:7]
	v_fma_f64 v[20:21], v[132:133], s[8:9], v[134:135]
	v_fma_f64 v[22:23], v[138:139], s[28:29], v[140:141]
	v_add_f64_e32 v[4:5], v[24:25], v[4:5]
	s_delay_alu instid0(VALU_DEP_4) | instskip(SKIP_4) | instid1(VALU_DEP_4)
	v_add_f64_e32 v[6:7], v[26:27], v[6:7]
	v_fma_f64 v[24:25], v[144:145], s[2:3], v[146:147]
	v_fma_f64 v[26:27], v[150:151], s[24:25], v[152:153]
	s_mov_b32 s2, 0x43156c6a
	s_mov_b32 s3, 0x3f4bb2f6
	v_add_f64_e32 v[4:5], v[20:21], v[4:5]
	s_delay_alu instid0(VALU_DEP_4) | instskip(SKIP_2) | instid1(VALU_DEP_4)
	v_add_f64_e32 v[6:7], v[22:23], v[6:7]
	v_fma_f64 v[20:21], v[156:157], s[0:1], v[158:159]
	v_fma_f64 v[22:23], v[162:163], s[18:19], v[164:165]
	v_add_f64_e32 v[4:5], v[24:25], v[4:5]
	s_delay_alu instid0(VALU_DEP_4) | instskip(NEXT) | instid1(VALU_DEP_2)
	v_add_f64_e32 v[6:7], v[26:27], v[6:7]
	v_add_f64_e32 v[4:5], v[20:21], v[4:5]
	s_delay_alu instid0(VALU_DEP_2) | instskip(SKIP_2) | instid1(VALU_DEP_2)
	v_add_f64_e32 v[6:7], v[22:23], v[6:7]
	v_add_f64_e32 v[20:21], v[68:69], v[38:39]
	v_add_f64_e32 v[22:23], v[70:71], v[34:35]
	v_add_f64_e32 v[2:3], v[20:21], v[2:3]
	s_delay_alu instid0(VALU_DEP_2) | instskip(NEXT) | instid1(VALU_DEP_2)
	v_add_f64_e32 v[0:1], v[22:23], v[0:1]
	v_add_f64_e32 v[2:3], v[2:3], v[48:49]
	s_delay_alu instid0(VALU_DEP_2) | instskip(NEXT) | instid1(VALU_DEP_2)
	v_add_f64_e32 v[0:1], v[0:1], v[50:51]
	v_add_f64_e32 v[2:3], v[2:3], v[52:53]
	;; [unrolled: 3-line block ×9, first 2 shown]
	s_delay_alu instid0(VALU_DEP_2)
	v_add_f64_e32 v[2:3], v[20:21], v[28:29]
	ds_store_b128 v255, v[102:105] offset:2912
	ds_store_b128 v255, v[106:109] offset:4368
	;; [unrolled: 1-line block ×12, first 2 shown]
	ds_store_b128 v255, v[0:3]
	global_wb scope:SCOPE_SE
	s_wait_dscnt 0x0
	s_barrier_signal -1
	s_barrier_wait -1
	global_inv scope:SCOPE_SE
	ds_load_b128 v[0:3], v255
	ds_load_b128 v[4:7], v255 offset:2704
	s_clause 0x6
	scratch_load_b128 v[12:15], off, off offset:36 th:TH_LOAD_LU
	scratch_load_b128 v[16:19], off, off offset:52 th:TH_LOAD_LU
	;; [unrolled: 1-line block ×7, first 2 shown]
	s_wait_loadcnt_dscnt 0x601
	v_mul_f64_e32 v[8:9], v[14:15], v[2:3]
	v_mul_f64_e32 v[10:11], v[14:15], v[0:1]
	s_wait_loadcnt_dscnt 0x500
	v_mul_f64_e32 v[14:15], v[18:19], v[4:5]
	s_delay_alu instid0(VALU_DEP_3) | instskip(NEXT) | instid1(VALU_DEP_3)
	v_fma_f64 v[8:9], v[12:13], v[0:1], v[8:9]
	v_fma_f64 v[10:11], v[12:13], v[2:3], -v[10:11]
	v_mul_f64_e32 v[12:13], v[18:19], v[6:7]
	ds_load_b128 v[0:3], v255 offset:5408
	v_fma_f64 v[14:15], v[16:17], v[6:7], -v[14:15]
	v_fma_f64 v[12:13], v[16:17], v[4:5], v[12:13]
	ds_load_b128 v[4:7], v255 offset:8112
	s_wait_loadcnt_dscnt 0x401
	v_mul_f64_e32 v[16:17], v[22:23], v[2:3]
	v_mul_f64_e32 v[18:19], v[22:23], v[0:1]
	s_wait_loadcnt_dscnt 0x300
	v_mul_f64_e32 v[22:23], v[26:27], v[4:5]
	s_delay_alu instid0(VALU_DEP_3) | instskip(NEXT) | instid1(VALU_DEP_3)
	v_fma_f64 v[16:17], v[20:21], v[0:1], v[16:17]
	v_fma_f64 v[18:19], v[20:21], v[2:3], -v[18:19]
	v_mul_f64_e32 v[20:21], v[26:27], v[6:7]
	ds_load_b128 v[0:3], v255 offset:10816
	v_fma_f64 v[22:23], v[24:25], v[6:7], -v[22:23]
	v_fma_f64 v[20:21], v[24:25], v[4:5], v[20:21]
	ds_load_b128 v[4:7], v255 offset:13520
	s_wait_loadcnt_dscnt 0x201
	v_mul_f64_e32 v[24:25], v[30:31], v[2:3]
	v_mul_f64_e32 v[26:27], v[30:31], v[0:1]
	s_wait_loadcnt_dscnt 0x100
	v_mul_f64_e32 v[30:31], v[34:35], v[4:5]
	s_delay_alu instid0(VALU_DEP_3) | instskip(NEXT) | instid1(VALU_DEP_3)
	v_fma_f64 v[24:25], v[28:29], v[0:1], v[24:25]
	v_fma_f64 v[26:27], v[28:29], v[2:3], -v[26:27]
	v_mul_f64_e32 v[28:29], v[34:35], v[6:7]
	ds_load_b128 v[0:3], v255 offset:16224
	v_fma_f64 v[30:31], v[32:33], v[6:7], -v[30:31]
	s_wait_loadcnt_dscnt 0x0
	v_mul_f64_e32 v[6:7], v[38:39], v[0:1]
	v_fma_f64 v[28:29], v[32:33], v[4:5], v[28:29]
	v_mul_f64_e32 v[4:5], v[38:39], v[2:3]
	s_clause 0x1
	scratch_load_b64 v[32:33], off, off offset:28 th:TH_LOAD_LU
	scratch_load_b32 v39, off, off offset:8 th:TH_LOAD_LU
	v_fma_f64 v[0:1], v[36:37], v[0:1], v[4:5]
	v_fma_f64 v[36:37], v[36:37], v[2:3], -v[6:7]
	s_wait_alu 0xfffe
	v_mul_f64_e32 v[6:7], s[2:3], v[12:13]
	v_mul_f64_e32 v[12:13], s[2:3], v[18:19]
	;; [unrolled: 1-line block ×4, first 2 shown]
	s_wait_loadcnt 0x0
	v_mad_co_u64_u32 v[34:35], null, s4, v39, 0
	s_delay_alu instid0(VALU_DEP_1) | instskip(NEXT) | instid1(VALU_DEP_1)
	v_dual_mov_b32 v38, v32 :: v_dual_mov_b32 v3, v35
	v_mad_co_u64_u32 v[32:33], null, s6, v38, 0
	s_delay_alu instid0(VALU_DEP_1) | instskip(NEXT) | instid1(VALU_DEP_1)
	v_mov_b32_e32 v2, v33
	v_mad_co_u64_u32 v[4:5], null, s7, v38, v[2:3]
	s_mul_u64 s[6:7], s[4:5], 0xa9
	s_wait_alu 0xfffe
	s_lshl_b64 s[6:7], s[6:7], 4
	s_delay_alu instid0(VALU_DEP_1)
	v_mov_b32_e32 v33, v4
	v_mad_co_u64_u32 v[2:3], null, s5, v39, v[3:4]
	v_mul_f64_e32 v[4:5], s[2:3], v[10:11]
	v_mul_f64_e32 v[10:11], s[2:3], v[16:17]
	;; [unrolled: 1-line block ×5, first 2 shown]
	v_mov_b32_e32 v35, v2
	v_lshlrev_b64_e32 v[2:3], 4, v[32:33]
	s_delay_alu instid0(VALU_DEP_2) | instskip(NEXT) | instid1(VALU_DEP_2)
	v_lshlrev_b64_e32 v[32:33], 4, v[34:35]
	v_add_co_u32 v34, s0, s10, v2
	s_wait_alu 0xf1ff
	s_delay_alu instid0(VALU_DEP_3)
	v_add_co_ci_u32_e64 v35, s0, s11, v3, s0
	v_mul_f64_e32 v[2:3], s[2:3], v[8:9]
	v_mul_f64_e32 v[8:9], s[2:3], v[14:15]
	v_add_co_u32 v30, s0, v34, v32
	v_mul_f64_e32 v[14:15], s[2:3], v[20:21]
	s_wait_alu 0xf1ff
	v_add_co_ci_u32_e64 v31, s0, v35, v33, s0
	v_mul_f64_e32 v[20:21], s[2:3], v[26:27]
	v_mul_f64_e32 v[26:27], s[2:3], v[0:1]
	s_wait_alu 0xfffe
	v_add_co_u32 v32, s0, v30, s6
	s_wait_alu 0xf1ff
	v_add_co_ci_u32_e64 v33, s0, s7, v31, s0
	s_delay_alu instid0(VALU_DEP_2) | instskip(SKIP_1) | instid1(VALU_DEP_2)
	v_add_co_u32 v34, s0, v32, s6
	s_wait_alu 0xf1ff
	v_add_co_ci_u32_e64 v35, s0, s7, v33, s0
	s_delay_alu instid0(VALU_DEP_2) | instskip(SKIP_1) | instid1(VALU_DEP_2)
	;; [unrolled: 4-line block ×5, first 2 shown]
	v_add_co_u32 v0, s0, v40, s6
	s_wait_alu 0xf1ff
	v_add_co_ci_u32_e64 v1, s0, s7, v41, s0
	s_clause 0x4
	global_store_b128 v[30:31], v[2:5], off
	global_store_b128 v[32:33], v[6:9], off
	;; [unrolled: 1-line block ×7, first 2 shown]
	s_and_b32 exec_lo, exec_lo, vcc_lo
	s_cbranch_execz .LBB0_15
; %bb.14:
	scratch_load_b64 v[56:57], off, off th:TH_LOAD_LU ; 8-byte Folded Reload
	v_mad_co_u64_u32 v[0:1], null, 0xffffc650, s4, v[0:1]
	s_mul_i32 s0, s5, 0xffffc650
	s_wait_loadcnt 0x0
	s_clause 0x4
	global_load_b128 v[2:5], v[56:57], off offset:1456
	global_load_b128 v[6:9], v[56:57], off offset:4160
	;; [unrolled: 1-line block ×5, first 2 shown]
	ds_load_b128 v[22:25], v255 offset:1456
	ds_load_b128 v[26:29], v255 offset:4160
	ds_load_b128 v[30:33], v255 offset:6864
	ds_load_b128 v[34:37], v255 offset:9568
	ds_load_b128 v[38:41], v255 offset:12272
	ds_load_b128 v[42:45], v255 offset:14976
	s_wait_alu 0xfffe
	s_sub_co_i32 s0, s0, s4
	s_wait_alu 0xfffe
	v_add_nc_u32_e32 v1, s0, v1
	s_wait_loadcnt_dscnt 0x405
	v_mul_f64_e32 v[46:47], v[24:25], v[4:5]
	v_mul_f64_e32 v[4:5], v[22:23], v[4:5]
	s_wait_loadcnt_dscnt 0x304
	v_mul_f64_e32 v[48:49], v[28:29], v[8:9]
	v_mul_f64_e32 v[8:9], v[26:27], v[8:9]
	;; [unrolled: 3-line block ×5, first 2 shown]
	v_fma_f64 v[22:23], v[22:23], v[2:3], v[46:47]
	v_fma_f64 v[4:5], v[2:3], v[24:25], -v[4:5]
	v_fma_f64 v[24:25], v[26:27], v[6:7], v[48:49]
	v_fma_f64 v[8:9], v[6:7], v[28:29], -v[8:9]
	;; [unrolled: 2-line block ×5, first 2 shown]
	v_mul_f64_e32 v[2:3], s[2:3], v[22:23]
	v_mul_f64_e32 v[4:5], s[2:3], v[4:5]
	;; [unrolled: 1-line block ×10, first 2 shown]
	v_add_co_u32 v22, vcc_lo, v0, s6
	s_wait_alu 0xfffd
	v_add_co_ci_u32_e32 v23, vcc_lo, s7, v1, vcc_lo
	s_delay_alu instid0(VALU_DEP_2) | instskip(SKIP_1) | instid1(VALU_DEP_2)
	v_add_co_u32 v24, vcc_lo, v22, s6
	s_wait_alu 0xfffd
	v_add_co_ci_u32_e32 v25, vcc_lo, s7, v23, vcc_lo
	s_delay_alu instid0(VALU_DEP_2) | instskip(SKIP_1) | instid1(VALU_DEP_2)
	;; [unrolled: 4-line block ×3, first 2 shown]
	v_add_co_u32 v28, vcc_lo, v26, s6
	s_wait_alu 0xfffd
	v_add_co_ci_u32_e32 v29, vcc_lo, s7, v27, vcc_lo
	global_store_b128 v[0:1], v[2:5], off
	global_store_b128 v[22:23], v[6:9], off
	;; [unrolled: 1-line block ×5, first 2 shown]
	global_load_b128 v[0:3], v[56:57], off offset:14976
	v_add_co_u32 v8, vcc_lo, v28, s6
	s_wait_alu 0xfffd
	v_add_co_ci_u32_e32 v9, vcc_lo, s7, v29, vcc_lo
	s_wait_loadcnt_dscnt 0x0
	v_mul_f64_e32 v[4:5], v[44:45], v[2:3]
	v_mul_f64_e32 v[2:3], v[42:43], v[2:3]
	s_delay_alu instid0(VALU_DEP_2) | instskip(NEXT) | instid1(VALU_DEP_2)
	v_fma_f64 v[4:5], v[42:43], v[0:1], v[4:5]
	v_fma_f64 v[2:3], v[0:1], v[44:45], -v[2:3]
	s_delay_alu instid0(VALU_DEP_2) | instskip(NEXT) | instid1(VALU_DEP_2)
	v_mul_f64_e32 v[0:1], s[2:3], v[4:5]
	v_mul_f64_e32 v[2:3], s[2:3], v[2:3]
	ds_load_b128 v[4:7], v255 offset:17680
	global_store_b128 v[8:9], v[0:3], off
	global_load_b128 v[0:3], v[56:57], off offset:17680
	s_wait_loadcnt_dscnt 0x0
	v_mul_f64_e32 v[10:11], v[6:7], v[2:3]
	v_mul_f64_e32 v[2:3], v[4:5], v[2:3]
	s_delay_alu instid0(VALU_DEP_2) | instskip(NEXT) | instid1(VALU_DEP_2)
	v_fma_f64 v[4:5], v[4:5], v[0:1], v[10:11]
	v_fma_f64 v[2:3], v[0:1], v[6:7], -v[2:3]
	s_delay_alu instid0(VALU_DEP_2) | instskip(NEXT) | instid1(VALU_DEP_2)
	v_mul_f64_e32 v[0:1], s[2:3], v[4:5]
	v_mul_f64_e32 v[2:3], s[2:3], v[2:3]
	v_add_co_u32 v4, vcc_lo, v8, s6
	s_wait_alu 0xfffd
	v_add_co_ci_u32_e32 v5, vcc_lo, s7, v9, vcc_lo
	global_store_b128 v[4:5], v[0:3], off
.LBB0_15:
	s_nop 0
	s_sendmsg sendmsg(MSG_DEALLOC_VGPRS)
	s_endpgm
	.section	.rodata,"a",@progbits
	.p2align	6, 0x0
	.amdhsa_kernel bluestein_single_back_len1183_dim1_dp_op_CI_CI
		.amdhsa_group_segment_fixed_size 37856
		.amdhsa_private_segment_fixed_size 332
		.amdhsa_kernarg_size 104
		.amdhsa_user_sgpr_count 2
		.amdhsa_user_sgpr_dispatch_ptr 0
		.amdhsa_user_sgpr_queue_ptr 0
		.amdhsa_user_sgpr_kernarg_segment_ptr 1
		.amdhsa_user_sgpr_dispatch_id 0
		.amdhsa_user_sgpr_private_segment_size 0
		.amdhsa_wavefront_size32 1
		.amdhsa_uses_dynamic_stack 0
		.amdhsa_enable_private_segment 1
		.amdhsa_system_sgpr_workgroup_id_x 1
		.amdhsa_system_sgpr_workgroup_id_y 0
		.amdhsa_system_sgpr_workgroup_id_z 0
		.amdhsa_system_sgpr_workgroup_info 0
		.amdhsa_system_vgpr_workitem_id 0
		.amdhsa_next_free_vgpr 256
		.amdhsa_next_free_sgpr 48
		.amdhsa_reserve_vcc 1
		.amdhsa_float_round_mode_32 0
		.amdhsa_float_round_mode_16_64 0
		.amdhsa_float_denorm_mode_32 3
		.amdhsa_float_denorm_mode_16_64 3
		.amdhsa_fp16_overflow 0
		.amdhsa_workgroup_processor_mode 1
		.amdhsa_memory_ordered 1
		.amdhsa_forward_progress 0
		.amdhsa_round_robin_scheduling 0
		.amdhsa_exception_fp_ieee_invalid_op 0
		.amdhsa_exception_fp_denorm_src 0
		.amdhsa_exception_fp_ieee_div_zero 0
		.amdhsa_exception_fp_ieee_overflow 0
		.amdhsa_exception_fp_ieee_underflow 0
		.amdhsa_exception_fp_ieee_inexact 0
		.amdhsa_exception_int_div_zero 0
	.end_amdhsa_kernel
	.text
.Lfunc_end0:
	.size	bluestein_single_back_len1183_dim1_dp_op_CI_CI, .Lfunc_end0-bluestein_single_back_len1183_dim1_dp_op_CI_CI
                                        ; -- End function
	.section	.AMDGPU.csdata,"",@progbits
; Kernel info:
; codeLenInByte = 21592
; NumSgprs: 50
; NumVgprs: 256
; ScratchSize: 332
; MemoryBound: 0
; FloatMode: 240
; IeeeMode: 1
; LDSByteSize: 37856 bytes/workgroup (compile time only)
; SGPRBlocks: 6
; VGPRBlocks: 31
; NumSGPRsForWavesPerEU: 50
; NumVGPRsForWavesPerEU: 256
; Occupancy: 5
; WaveLimiterHint : 1
; COMPUTE_PGM_RSRC2:SCRATCH_EN: 1
; COMPUTE_PGM_RSRC2:USER_SGPR: 2
; COMPUTE_PGM_RSRC2:TRAP_HANDLER: 0
; COMPUTE_PGM_RSRC2:TGID_X_EN: 1
; COMPUTE_PGM_RSRC2:TGID_Y_EN: 0
; COMPUTE_PGM_RSRC2:TGID_Z_EN: 0
; COMPUTE_PGM_RSRC2:TIDIG_COMP_CNT: 0
	.text
	.p2alignl 7, 3214868480
	.fill 96, 4, 3214868480
	.type	__hip_cuid_bb6e7fed3b701a45,@object ; @__hip_cuid_bb6e7fed3b701a45
	.section	.bss,"aw",@nobits
	.globl	__hip_cuid_bb6e7fed3b701a45
__hip_cuid_bb6e7fed3b701a45:
	.byte	0                               ; 0x0
	.size	__hip_cuid_bb6e7fed3b701a45, 1

	.ident	"AMD clang version 19.0.0git (https://github.com/RadeonOpenCompute/llvm-project roc-6.4.0 25133 c7fe45cf4b819c5991fe208aaa96edf142730f1d)"
	.section	".note.GNU-stack","",@progbits
	.addrsig
	.addrsig_sym __hip_cuid_bb6e7fed3b701a45
	.amdgpu_metadata
---
amdhsa.kernels:
  - .args:
      - .actual_access:  read_only
        .address_space:  global
        .offset:         0
        .size:           8
        .value_kind:     global_buffer
      - .actual_access:  read_only
        .address_space:  global
        .offset:         8
        .size:           8
        .value_kind:     global_buffer
      - .actual_access:  read_only
        .address_space:  global
        .offset:         16
        .size:           8
        .value_kind:     global_buffer
      - .actual_access:  read_only
        .address_space:  global
        .offset:         24
        .size:           8
        .value_kind:     global_buffer
      - .actual_access:  read_only
        .address_space:  global
        .offset:         32
        .size:           8
        .value_kind:     global_buffer
      - .offset:         40
        .size:           8
        .value_kind:     by_value
      - .address_space:  global
        .offset:         48
        .size:           8
        .value_kind:     global_buffer
      - .address_space:  global
        .offset:         56
        .size:           8
        .value_kind:     global_buffer
      - .address_space:  global
        .offset:         64
        .size:           8
        .value_kind:     global_buffer
      - .address_space:  global
        .offset:         72
        .size:           8
        .value_kind:     global_buffer
      - .offset:         80
        .size:           4
        .value_kind:     by_value
      - .address_space:  global
        .offset:         88
        .size:           8
        .value_kind:     global_buffer
      - .address_space:  global
        .offset:         96
        .size:           8
        .value_kind:     global_buffer
    .group_segment_fixed_size: 37856
    .kernarg_segment_align: 8
    .kernarg_segment_size: 104
    .language:       OpenCL C
    .language_version:
      - 2
      - 0
    .max_flat_workgroup_size: 182
    .name:           bluestein_single_back_len1183_dim1_dp_op_CI_CI
    .private_segment_fixed_size: 332
    .sgpr_count:     50
    .sgpr_spill_count: 0
    .symbol:         bluestein_single_back_len1183_dim1_dp_op_CI_CI.kd
    .uniform_work_group_size: 1
    .uses_dynamic_stack: false
    .vgpr_count:     256
    .vgpr_spill_count: 88
    .wavefront_size: 32
    .workgroup_processor_mode: 1
amdhsa.target:   amdgcn-amd-amdhsa--gfx1201
amdhsa.version:
  - 1
  - 2
...

	.end_amdgpu_metadata
